;; amdgpu-corpus repo=ROCm/hipBLASLt kind=harvested arch=n/a opt=n/a

/******************************************/
/* Begin Kernel                           */
/******************************************/
.amdgcn_target "amdgcn-amd-amdhsa--gfx942"
.text
.protected Custom_Cijk_Ailk_Bljk_HHS_BH_Bias_GG_AS_SAV_UserArgs_shortname11_gfx942
.globl Custom_Cijk_Ailk_Bljk_HHS_BH_Bias_GG_AS_SAV_UserArgs_shortname11_gfx942
.p2align 8
.type Custom_Cijk_Ailk_Bljk_HHS_BH_Bias_GG_AS_SAV_UserArgs_shortname11_gfx942,@function
.section .rodata,#alloc
.p2align 6
.amdhsa_kernel Custom_Cijk_Ailk_Bljk_HHS_BH_Bias_GG_AS_SAV_UserArgs_shortname11_gfx942
  .amdhsa_user_sgpr_kernarg_segment_ptr 1
  .amdhsa_accum_offset 256 // accvgpr offset
  .amdhsa_next_free_vgpr 512 // vgprs
  .amdhsa_next_free_sgpr 102 // sgprs
  .amdhsa_group_segment_fixed_size 65536 // lds bytes
  .amdhsa_private_segment_fixed_size 0
  .amdhsa_system_sgpr_workgroup_id_x 1
  .amdhsa_system_sgpr_workgroup_id_y 1
  .amdhsa_system_sgpr_workgroup_id_z 1
  .amdhsa_system_vgpr_workitem_id 0
  .amdhsa_float_denorm_mode_32 3
  .amdhsa_float_denorm_mode_16_64 3
  .amdhsa_user_sgpr_count 13
  .amdhsa_user_sgpr_kernarg_preload_length 11
  .amdhsa_user_sgpr_kernarg_preload_offset 0
.end_amdhsa_kernel
.text
/* Num VGPR   =256 */
/* Num AccVGPR=256 */
/* Num SGPR   =99 */

/******************************************/
/* Optimizations and Config:              */
/******************************************/
/* ThreadTile= 16 x 16 */
/* SubGroup= 16 x 16 */
/* VectorWidthA=4 */
/* VectorWidthB=1 */
/* GlobalReadVectorWidthA=4, GlobalReadVectorWidthB=4 */
/* DirectToLdsA=False */
/* DirectToLdsB=False */
/* UseSgprForGRO=1 */
.amdgpu_metadata
---
custom.config:
   ProblemType:
      OperationType: GEMM
      DataType: h
      DestDataType: h
      ComputeDataType: s
      HighPrecisionAccumulate: True
      TransposeA: False
      TransposeB: False
      UseBias: 1
      Activation: True
      UseScaleAlphaVec: 1
      UseBeta: True
      Batched: True
      GroupedGemm:   True
      SupportUserArgs: True
   EnableF32XdlMathOp: False
   EnableMatrixInstruction: True
   MFMA_BF16_1K: False
   MIBlock: [16, 16, 16, 1, 1, 1]
   MIInputPerThread: 4
   MIInputPerThreadA: 4
   MIInputPerThreadB: 4
   MIInputPerThreadMetadata: 4
   MIWaveGroup: [4, 1]
   MIWaveTile: [4, 16]
   MatrixInstB: 1
   MatrixInstBM: 1
   MatrixInstBN: 1
   MatrixInstK: 16
   MatrixInstM: 16
   MatrixInstN: 16
   MatrixInstruction: [16, 16, 16, 1]
   Sparse: 0
   ThreadTile: [1, 1]
   WavefrontSize: 64
   WorkGroup: [64, 4, 1]
   1LDSBuffer: 1
   ScheduleIterAlg: 3
   DepthU: 64
   StaggerU: 8
   WorkGroupMapping: 8
   WaveSeparateGlobalReadA: 1
   WaveSeparateGlobalReadB: 1
   GlobalReadVectorWidthA: 4
   GlobalReadVectorWidthB: 4
   AssertFree0ElementMultiple: 4
   AssertSummationElementMultiple: 128
   NoReject: 1
   InternalSupportParams:
      KernArgsVersion: 0
      SupportUserGSU: False
      SupportCustomWGM: False
      SupportCustomStaggerU: False
      UseUniversalArgs: False
amdhsa.version:
  - 1
  - 1
amdhsa.kernels:
  - .name: Custom_Cijk_Ailk_Bljk_HHS_BH_Bias_GG_AS_SAV_UserArgs_shortname11_gfx942
    .symbol: 'Custom_Cijk_Ailk_Bljk_HHS_BH_Bias_GG_AS_SAV_UserArgs_shortname11_gfx942.kd'
    .language:                   OpenCL C
    .language_version:
      - 2
      - 0
    .args:
      - .name:            SizesFree0
        .size:            4
        .offset:          0
        .value_kind:      by_value
        .value_type:      u32
      - .name:            SizesFree1
        .size:            4
        .offset:          4
        .value_kind:      by_value
        .value_type:      u32
      - .name:            SizesFree2
        .size:            4
        .offset:          8
        .value_kind:      by_value
        .value_type:      u32
      - .name:            SizesSum0
        .size:            4
        .offset:          12
        .value_kind:      by_value
        .value_type:      u32
      - .name:            D
        .size:            8
        .offset:          16
        .value_kind:      global_buffer
        .value_type:      f16
        .address_space:   generic
      - .name:            C
        .size:            8
        .offset:          24
        .value_kind:      global_buffer
        .value_type:      f16
        .address_space:   generic
      - .name:            A
        .size:            8
        .offset:          32
        .value_kind:      global_buffer
        .value_type:      f16
        .address_space:   generic
      - .name:            B
        .size:            8
        .offset:          40
        .value_kind:      global_buffer
        .value_type:      f16
        .address_space:   generic
      - .name:            strideD0
        .size:            4
        .offset:          48
        .value_kind:      by_value
        .value_type:      u32
      - .name:            strideD1
        .size:            4
        .offset:          52
        .value_kind:      by_value
        .value_type:      u32
      - .name:            strideC0
        .size:            4
        .offset:          56
        .value_kind:      by_value
        .value_type:      u32
      - .name:            strideC1
        .size:            4
        .offset:          60
        .value_kind:      by_value
        .value_type:      u32
      - .name:            strideA0
        .size:            4
        .offset:          64
        .value_kind:      by_value
        .value_type:      u32
      - .name:            strideA1
        .size:            4
        .offset:          68
        .value_kind:      by_value
        .value_type:      u32
      - .name:            strideB0
        .size:            4
        .offset:          72
        .value_kind:      by_value
        .value_type:      u32
      - .name:            strideB1
        .size:            4
        .offset:          76
        .value_kind:      by_value
        .value_type:      u32
      - .name:            alpha
        .size:            4
        .offset:          80
        .value_kind:      by_value
        .value_type:      f32
      - .name:            beta
        .size:            4
        .offset:          84
        .value_kind:      by_value
        .value_type:      f32
      - .name:            AddressScaleAlphaVec
        .size:            8
        .offset:          88
        .value_kind:      global_buffer
        .value_type:      f32
        .address_space:   generic
      - .name:            bias
        .size:            8
        .offset:          96
        .value_kind:      global_buffer
        .value_type:      void
        .address_space:   generic
      - .name:            biasType
        .size:            4
        .offset:          104
        .value_kind:      by_value
        .value_type:      u32
      - .name:            StrideBias
        .size:            4
        .offset:          108
        .value_kind:      by_value
        .value_type:      u32
      - .name:            activationAlpha
        .size:            4
        .offset:          112
        .value_kind:      by_value
        .value_type:      f32
      - .name:            activationBeta
        .size:            4
        .offset:          116
        .value_kind:      by_value
        .value_type:      f32
      - .name:            activationType
        .size:            4
        .offset:          120
        .value_kind:      by_value
        .value_type:      u32
    .group_segment_fixed_size:   34816
    .kernarg_segment_align:      8
    .kernarg_segment_size:       128
    .max_flat_workgroup_size:    256
    .private_segment_fixed_size: 0
    .sgpr_count:                 99
    .sgpr_spill_count:           0
    .vgpr_count:                 256
    .vgpr_spill_count:           0
    .wavefront_size:             64
...
.end_amdgpu_metadata
Custom_Cijk_Ailk_Bljk_HHS_BH_Bias_GG_AS_SAV_UserArgs_shortname11_gfx942:
.long 0xC00206C0, 0x00000000
.long 0xC0020B80, 0x00000018
	;; [unrolled: 1-line block ×4, first 2 shown]
.long 0xBF8CC07F
.long 0xBF82003D
	;; [unrolled: 1-line block ×63, first 2 shown]
.long 0xBEC100FF, 0x05040100
.long 0xBEC200FF, 0x07060302
	;; [unrolled: 1-line block ×3, first 2 shown]
.long 0x7FFC0300
.long 0xBE82000D
	;; [unrolled: 1-line block ×6, first 2 shown]
.long 0xBE9A00FF, 0x0000007C
.long 0x9216841B
.long 0xBE900100
.long 0xBF820004
.long 0xBE9A00FF, 0x000000C4
.long 0xBE960080
.long 0xBE900106
.long 0xBE980081
.long 0xBE970080
.long 0xC0080308, 0x00000016
.long 0xB41B0001
	;; [unrolled: 5-line block ×3, first 2 shown]
.long 0x8F15880D
.long 0x86120DFF, 0x000000FF
.long 0x82158015
.long 0x92141514
	;; [unrolled: 1-line block ×8, first 2 shown]
.long 0xC0080308, 0x00000016
.long 0x80188118
.long 0xBF0A1B18
	;; [unrolled: 1-line block ×5, first 2 shown]
.long 0x86120CFF, 0x000000FF
.long 0x82148014
.long 0x8F15880D
.long 0x86120DFF, 0x000000FF
.long 0x82158015
.long 0x92141514
	;; [unrolled: 1-line block ×12, first 2 shown]
.long 0x920BFF0B, 0x0000007C
.long 0x80000B00
.long 0x82018001
.long 0xC0120600, 0x00000000
.long 0xC00A0A00, 0x00000040
	;; [unrolled: 1-line block ×3, first 2 shown]
.long 0xBF82000C
.long 0x920BFF0B, 0x000000C4
.long 0x80060B06
.long 0x82078007
.long 0xC0120603, 0x00000000
.long 0xC00A0A03, 0x00000040
	;; [unrolled: 1-line block ×4, first 2 shown]
.long 0x2603FCBF
.long 0x2600028F
	;; [unrolled: 1-line block ×27, first 2 shown]
.long 0xBE8F00FF, 0x00000100
.long 0xD2850000, 0x0002000F
	;; [unrolled: 1-line block ×3, first 2 shown]
.long 0x2005DA87
.long 0x24040483
	;; [unrolled: 1-line block ×22, first 2 shown]
.long 0xD1FE00A9, 0x02075305
.long 0x200D5287
.long 0x240C0C83
	;; [unrolled: 1-line block ×4, first 2 shown]
.long 0x7E1002FF, 0x00000100
.long 0x7E0E0218
.long 0x7E0C0D08
	;; [unrolled: 1-line block ×8, first 2 shown]
.long 0xD0CD006A, 0x00010109
.long 0xD11C6A06, 0x01A90106
	;; [unrolled: 1-line block ×3, first 2 shown]
.long 0x7E0E0219
.long 0x7E1A0506
	;; [unrolled: 1-line block ×9, first 2 shown]
.long 0xD0CD006A, 0x00010109
.long 0xD11C6A06, 0x01A90106
.long 0xBF800000
.long 0x7E1C0506
	;; [unrolled: 1-line block ×12, first 2 shown]
.long 0xD1080007, 0x0000C506
.long 0x6A0E0E02
.long 0xD0DA007E, 0x0000C507
.long 0x680C0C81
.long 0xBEFE01C1
	;; [unrolled: 1-line block ×13, first 2 shown]
.long 0xD1080007, 0x00001B06
.long 0x6A0E0E02
.long 0xD0DA007E, 0x00001B07
.long 0x680C0C81
.long 0xBEFE01C1
	;; [unrolled: 1-line block ×13, first 2 shown]
.long 0xD042006A, 0x0001002C
.long 0xBF860001
.long 0xBE9B0080
	;; [unrolled: 1-line block ×9, first 2 shown]
.long 0xD1080007, 0x00005D06
.long 0x6A0E0E03
.long 0xD0DA007E, 0x00005D07
.long 0x680C0C81
.long 0x7E0E0280
	;; [unrolled: 1-line block ×11, first 2 shown]
.long 0xBEE100FF, 0x10000001
.long 0x96656103
.long 0x92646103
	;; [unrolled: 1-line block ×21, first 2 shown]
.long 0xD1080007, 0x0000C506
.long 0x6A0E0E65
.long 0xD0DA007E, 0x0000C507
.long 0x680C0C81
.long 0x7E0E0280
	;; [unrolled: 1-line block ×16, first 2 shown]
.long 0xD2850001, 0x00020284
.long 0xD2850001, 0x00020228
.long 0x68000101
.long 0x2003FC86
.long 0x26020283
.long 0x24020286
.long 0xD1FE00AA, 0x02060101
.long 0x69555488
.long 0x92438128
.long 0x8E438143
.long 0x92448228
.long 0x8E448144
.long 0x92458328
.long 0x8E458145
.long 0x92469028
.long 0x8E468146
.long 0x92479128
.long 0x8E478147
.long 0x92489228
.long 0x8E488148
.long 0x92499328
.long 0x8E498149
.long 0x924AA028
.long 0x8E4A814A
.long 0x924BA128
.long 0x8E4B814B
.long 0x924CA228
.long 0x8E4C814C
.long 0x924DA328
.long 0x8E4D814D
.long 0x924EB028
.long 0x8E4E814E
.long 0x924FB128
.long 0x8E4F814F
.long 0x9250B228
.long 0x8E508150
.long 0x9251B328
.long 0x8E518151
.long 0xD2850006, 0x0002042A
.long 0x33560D03
.long 0x69575684
	;; [unrolled: 1-line block ×33, first 2 shown]
.long 0x9665FF02, 0x00000100
.long 0x9264FF02, 0x00000100
.long 0x966308C0
.long 0x926208C0
	;; [unrolled: 1-line block ×32, first 2 shown]
.long 0xBEB300FF, 0x00020000
.long 0x9665FF03, 0x00000100
	;; [unrolled: 1-line block ×3, first 2 shown]
.long 0x96652A64
.long 0x92642A64
	;; [unrolled: 1-line block ×32, first 2 shown]
.long 0xBEB700FF, 0x00020000
.long 0x9261FF2E, 0x00000080
.long 0x922F2861
.long 0x9261FF2E, 0x00000080
.long 0xBEC00061
.long 0x8F0B861B
	;; [unrolled: 1-line block ×9, first 2 shown]
.long 0xD1080001, 0x00005D00
.long 0x6A02020B
.long 0xD0DA007E, 0x00005D01
.long 0x68000081
.long 0x7E020280
	;; [unrolled: 1-line block ×47, first 2 shown]
.long 0xE0541000, 0x800CACAA
.long 0xE0541000, 0x430CAEAA
	;; [unrolled: 1-line block ×32, first 2 shown]
.long 0x8064810B
.long 0xBF06640F
	;; [unrolled: 1-line block ×22, first 2 shown]
.long 0xBE9200FF, 0x80000000
.long 0xBE9300FF, 0x00020000
.long 0xBE94001E
.long 0xBE95001F
.long 0xBE9600FF, 0x80000000
.long 0xBE9700FF, 0x00020000
	;; [unrolled: 1-line block ×3, first 2 shown]
.long 0x96632664
.long 0x92622664
	;; [unrolled: 1-line block ×39, first 2 shown]
.long 0xD3D94000, 0x18000080
.long 0xD3D94001, 0x18000080
	;; [unrolled: 1-line block ×256, first 2 shown]
.long 0xBF06800B
.long 0xBF840006
	;; [unrolled: 1-line block ×3, first 2 shown]
.long 0x816484FF, 0x000071AC
.long 0x80626462
.long 0x82638063
.long 0xBE801D62
.long 0xBF8C0F70
.long 0x7E1071AC
.long 0x7E2071AE
.long 0x7E3071B0
.long 0x7E4071B2
.long 0x7E1471B4
.long 0x7E2471B6
.long 0x7E3471B8
.long 0x7E4471BA
.long 0x7E1871BC
.long 0x7E2871BE
.long 0x7E3871C0
.long 0x7E4871C2
.long 0x7E1C71C4
.long 0x7E2C71C6
.long 0x7E3C71C8
.long 0x7E4C71CA
.long 0xD89A0000, 0x0000CCA9
.long 0xD89A0220, 0x0000CEA9
	;; [unrolled: 1-line block ×16, first 2 shown]
.long 0xBF06810B
.long 0xBF850040
.long 0xE0541000, 0x800DACAB
.long 0xE0541000, 0x520DAEAB
	;; [unrolled: 1-line block ×32, first 2 shown]
.long 0xBF8CC07F
.long 0xBF8A0000
.long 0xD8EC0000, 0x280000ED
.long 0xD8EC0880, 0x2A0000ED
	;; [unrolled: 1-line block ×24, first 2 shown]
.long 0xBF06810B
.long 0xBF850A04
	;; [unrolled: 1-line block ×5, first 2 shown]
.long 0xD3CD8000, 0x04020128
.long 0xD8EC0020, 0x480000ED
.long 0xBF060F0B
.long 0xD3CD8004, 0x04120528
.long 0xD8EC08A0, 0x4A0000ED
.long 0x85622F3C
	;; [unrolled: 3-line block ×17, first 2 shown]
.long 0xD3CD8044, 0x05120530
.long 0xD3CD8048, 0x05220930
	;; [unrolled: 1-line block ×3, first 2 shown]
.long 0x8536C13A
.long 0xD3CD804C, 0x05320D30
.long 0xD8EC1140, 0x6C0000ED
	;; [unrolled: 1-line block ×85, first 2 shown]
.long 0xBF8CCF7F
.long 0xD3CD8000, 0x0403DD48
.long 0xD1ED0002, 0x010A1914
	;; [unrolled: 1-line block ×22, first 2 shown]
.long 0xBF8CC07F
.long 0xBF8A0000
.long 0xD3CD8020, 0x0483DD4C
.long 0xBF8C4F7F
.long 0xD89A0000, 0x0000ACA9
.long 0xD3CD8024, 0x0493E14C
.long 0xE0541000, 0x800CACAA
.long 0xD3CD8028, 0x04A3E54C
.long 0xD3CD802C, 0x04B3E94C
.long 0xD3CD8030, 0x04C3DD4E
.long 0xD3CD8034, 0x04D3E14E
.long 0xBF8C4F7F
.long 0xD89A0220, 0x0000AEA9
.long 0xD3CD8038, 0x04E3E54E
.long 0xE0541000, 0x430CAEAA
.long 0xD3CD803C, 0x04F3E94E
.long 0xD3CD8040, 0x0503DD50
.long 0xD3CD8044, 0x0513E150
	;; [unrolled: 8-line block ×11, first 2 shown]
.long 0xD3CD80FC, 0x07F3E966
.long 0xBF8C4F7F
.long 0xD89A1760, 0x0000C2A9
.long 0xBF8CCC7F
.long 0xD3CD8000, 0x04020168
.long 0xE0541000, 0x4D0CC2AA
.long 0xD3CD8004, 0x04120568
.long 0xD3CD8008, 0x04220968
.long 0xD3CD800C, 0x04320D68
.long 0xD3CD8010, 0x0442016A
.long 0xBF8C4F7F
.long 0xD89A1980, 0x0000C4A9
.long 0xD3CD8014, 0x0452056A
.long 0xE0541000, 0x4E0CC4AA
.long 0xD3CD8018, 0x0462096A
.long 0xD3CD801C, 0x04720D6A
.long 0xD3CD8020, 0x0482016C
.long 0xD3CD8024, 0x0492056C
.long 0xBF8C4F7F
.long 0xD89A1BA0, 0x0000C6A9
	;; [unrolled: 8-line block ×4, first 2 shown]
.long 0xD3CD8050, 0x05420172
.long 0xE0541000, 0x510CCAAA
.long 0xD3CD8054, 0x05520572
.long 0xD3CD8058, 0x05620972
.long 0xD3CD805C, 0x05720D72
.long 0xD3CD8060, 0x05820174
.long 0xBF8C4F7F
.long 0x7E1071CC
.long 0xD3CD8064, 0x05920574
.long 0xE0541000, 0x800DCCAB
.long 0xD3CD8068, 0x05A20974
.long 0xD3CD806C, 0x05B20D74
.long 0xD3CD8070, 0x05C20176
.long 0xD3CD8074, 0x05D20576
.long 0xBF8C4F7F
.long 0x7E2071CE
	;; [unrolled: 8-line block ×8, first 2 shown]
.long 0xD3CD80F0, 0x07C20186
.long 0xE0541000, 0x580DDAAB
	;; [unrolled: 1-line block ×5, first 2 shown]
.long 0xBF8CCD7F
.long 0xD3CD8000, 0x0403ED88
.long 0xBF8C4F7F
.long 0x7E1871DC
.long 0xD3CD8004, 0x0413F188
.long 0xE0541000, 0x590DDCAB
.long 0xD3CD8008, 0x0423F588
.long 0xD3CD800C, 0x0433F988
.long 0xD3CD8010, 0x0443ED8A
.long 0xD3CD8014, 0x0453F18A
.long 0xBF8C4F7F
.long 0x7E2871DE
.long 0xD3CD8018, 0x0463F58A
.long 0xE0541000, 0x5A0DDEAB
.long 0xD3CD801C, 0x0473F98A
.long 0xD3CD8020, 0x0483ED8C
.long 0xD3CD8024, 0x0493F18C
	;; [unrolled: 8-line block ×8, first 2 shown]
.long 0xD3CD80A0, 0x0683ED9C
.long 0xD3CD80A4, 0x0693F19C
	;; [unrolled: 1-line block ×3, first 2 shown]
.long 0xBF8CC07F
.long 0xBF8A0000
.long 0xD3CD80AC, 0x06B3F99C
.long 0xD8EC0000, 0x280000ED
	;; [unrolled: 1-line block ×45, first 2 shown]
.long 0x808B810B
.long 0xBF8CC07F
.long 0xD3CD8000, 0x04020128
.long 0xD8EC0020, 0x480000ED
.long 0xBF060F0B
.long 0xD3CD8004, 0x04120528
.long 0xD8EC08A0, 0x4A0000ED
	;; [unrolled: 3-line block ×18, first 2 shown]
.long 0xD8EC08C0, 0x6A0000ED
.long 0x8536C13A
.long 0xD3CD804C, 0x05320D30
.long 0xD8EC1140, 0x6C0000ED
.long 0xD3CD8050, 0x05420132
.long 0xD8EC19C0, 0x6E0000ED
.long 0xD3CD8054, 0x05520532
.long 0xD8EC2240, 0x700000ED
.long 0xD3CD8058, 0x05620932
.long 0xD8EC2AC0, 0x720000ED
.long 0xD3CD805C, 0x05720D32
.long 0xD8EC3340, 0x740000ED
.long 0xD3CD8060, 0x05820134
.long 0xD8EC3BC0, 0x760000ED
.long 0xD3CD8064, 0x05920534
.long 0xD8EC4440, 0x780000ED
.long 0xD3CD8068, 0x05A20934
.long 0xD8EC4CC0, 0x7A0000ED
.long 0xD3CD806C, 0x05B20D34
.long 0xD8EC5540, 0x7C0000ED
.long 0xD3CD8070, 0x05C20136
.long 0xD8EC5DC0, 0x7E0000ED
.long 0xD3CD8074, 0x05D20536
.long 0xD8EC6640, 0x800000ED
.long 0xD3CD8078, 0x05E20936
.long 0xD8EC6EC0, 0x820000ED
.long 0xD3CD807C, 0x05F20D36
.long 0xD8EC7740, 0x840000ED
.long 0xD3CD8080, 0x06020138
.long 0xD8EC7FC0, 0x860000ED
.long 0xD3CD8084, 0x06120538
.long 0xD8EC0060, 0x880000ED
.long 0xD3CD8088, 0x06220938
.long 0xD8EC08E0, 0x8A0000ED
.long 0xD3CD808C, 0x06320D38
.long 0xD8EC1160, 0x8C0000ED
.long 0xD3CD8090, 0x0642013A
.long 0xD8EC19E0, 0x8E0000ED
.long 0xD3CD8094, 0x0652053A
.long 0xD8EC2260, 0x900000ED
.long 0xD3CD8098, 0x0662093A
.long 0xD8EC2AE0, 0x920000ED
.long 0xD3CD809C, 0x06720D3A
.long 0xD8EC3360, 0x940000ED
.long 0xD3CD80A0, 0x0682013C
.long 0xD8EC3BE0, 0x960000ED
.long 0xD3CD80A4, 0x0692053C
.long 0xD8EC4460, 0x980000ED
.long 0xD3CD80A8, 0x06A2093C
.long 0xD8EC4CE0, 0x9A0000ED
.long 0xD3CD80AC, 0x06B20D3C
.long 0xD8EC5560, 0x9C0000ED
.long 0xD3CD80B0, 0x06C2013E
.long 0xD8EC5DE0, 0x9E0000ED
.long 0xD3CD80B4, 0x06D2053E
.long 0xD8EC6660, 0xA00000ED
.long 0xD3CD80B8, 0x06E2093E
.long 0xD8EC6EE0, 0xA20000ED
.long 0xD3CD80BC, 0x06F20D3E
.long 0xD8EC7760, 0xA40000ED
.long 0xD3CD80C0, 0x07020140
.long 0xD8EC7FE0, 0xA60000ED
.long 0xD3CD80C4, 0x07120540
.long 0xD3CD80C8, 0x07220940
.long 0xD3CD80CC, 0x07320D40
.long 0xD3CD80D0, 0x07420142
.long 0xD3CD80D4, 0x07520542
.long 0xD3CD80D8, 0x07620942
.long 0xD3CD80DC, 0x07720D42
.long 0xD3CD80E0, 0x07820144
.long 0xD3CD80E4, 0x07920544
.long 0xD3CD80E8, 0x07A20944
.long 0xD3CD80EC, 0x07B20D44
.long 0xD3CD80F0, 0x07C20146
.long 0xD1ED00EE, 0x01061512
.long 0xD1ED00EF, 0x01063522
.long 0xD3CD80F4, 0x07D20546
.long 0xD1ED00F0, 0x010A1512
.long 0xD1ED00F1, 0x010A3522
.long 0xD1ED00F2, 0x01061713
.long 0xD3CD80F8, 0x07E20946
.long 0xD1ED00F3, 0x01063723
.long 0xD1ED00F4, 0x010A1713
.long 0xD1ED00F5, 0x010A3723
.long 0xD3CD80FC, 0x07F20D46
.long 0xD1ED0000, 0x01061914
.long 0xD1ED0001, 0x01063924
.long 0xBF8CCF7F
.long 0xD3CD8000, 0x0403DD48
.long 0xD1ED0002, 0x010A1914
	;; [unrolled: 1-line block ×22, first 2 shown]
.long 0xBF8CC07F
.long 0xBF8A0000
.long 0xD3CD8020, 0x0483DD4C
.long 0xBF8C4F7F
.long 0x7E1071AC
.long 0xD3CD8024, 0x0493E14C
.long 0xE0541000, 0x800DACAB
.long 0xD3CD8028, 0x04A3E54C
.long 0xD3CD802C, 0x04B3E94C
.long 0xD3CD8030, 0x04C3DD4E
.long 0xD3CD8034, 0x04D3E14E
.long 0xBF8C4F7F
.long 0x7E2071AE
.long 0xD3CD8038, 0x04E3E54E
.long 0xE0541000, 0x520DAEAB
.long 0xD3CD803C, 0x04F3E94E
.long 0xD3CD8040, 0x0503DD50
.long 0xD3CD8044, 0x0513E150
	;; [unrolled: 8-line block ×11, first 2 shown]
.long 0xD3CD80FC, 0x07F3E966
.long 0xBF8C4F7F
.long 0x7E4871C2
.long 0xBF8CCC7F
.long 0xD3CD8000, 0x04020168
.long 0xE0541000, 0x5C0DC2AB
.long 0xD3CD8004, 0x04120568
.long 0xD3CD8008, 0x04220968
.long 0xD3CD800C, 0x04320D68
.long 0xD3CD8010, 0x0442016A
.long 0xBF8C4F7F
.long 0x7E1C71C4
.long 0xD3CD8014, 0x0452056A
.long 0xE0541000, 0x5D0DC4AB
.long 0xD3CD8018, 0x0462096A
.long 0xD3CD801C, 0x04720D6A
.long 0xD3CD8020, 0x0482016C
.long 0xD3CD8024, 0x0492056C
.long 0xBF8C4F7F
.long 0x7E2C71C6
	;; [unrolled: 8-line block ×4, first 2 shown]
.long 0xD3CD8050, 0x05420172
.long 0xE0541000, 0x600DCAAB
.long 0xD3CD8054, 0x05520572
.long 0xD3CD8058, 0x05620972
.long 0xD3CD805C, 0x05720D72
.long 0xD3CD8060, 0x05820174
.long 0xBF8C4F7F
.long 0xD89A0000, 0x0000CCA9
.long 0xD3CD8064, 0x05920574
.long 0xE0541000, 0x800CCCAA
.long 0xD3CD8068, 0x05A20974
.long 0xD3CD806C, 0x05B20D74
.long 0xD3CD8070, 0x05C20176
.long 0xD3CD8074, 0x05D20576
.long 0xBF8C4F7F
.long 0xD89A0220, 0x0000CEA9
	;; [unrolled: 8-line block ×8, first 2 shown]
.long 0xD3CD80F0, 0x07C20186
.long 0xE0541000, 0x490CDAAA
	;; [unrolled: 1-line block ×5, first 2 shown]
.long 0xBF8CCD7F
.long 0xD3CD8000, 0x0403ED88
.long 0xBF8C4F7F
.long 0xD89A1100, 0x0000DCA9
.long 0xD3CD8004, 0x0413F188
.long 0xE0541000, 0x4A0CDCAA
.long 0xD3CD8008, 0x0423F588
.long 0xD3CD800C, 0x0433F988
.long 0xD3CD8010, 0x0443ED8A
.long 0xD3CD8014, 0x0453F18A
.long 0xBF8C4F7F
.long 0xD89A1320, 0x0000DEA9
.long 0xD3CD8018, 0x0463F58A
.long 0xE0541000, 0x4B0CDEAA
.long 0xD3CD801C, 0x0473F98A
.long 0xD3CD8020, 0x0483ED8C
.long 0xD3CD8024, 0x0493F18C
	;; [unrolled: 8-line block ×8, first 2 shown]
.long 0xD3CD80A0, 0x0683ED9C
.long 0xD3CD80A4, 0x0693F19C
.long 0xD3CD80A8, 0x06A3F59C
.long 0xBF8CC07F
.long 0xBF8A0000
.long 0xD3CD80AC, 0x06B3F99C
.long 0xD8EC0000, 0x280000ED
	;; [unrolled: 1-line block ×45, first 2 shown]
.long 0x808B810B
.long 0xBF00820B
	;; [unrolled: 1-line block ×4, first 2 shown]
.long 0xD3CD8000, 0x04020128
.long 0xD8EC0020, 0x480000ED
.long 0xBF060F0B
.long 0xD3CD8004, 0x04120528
.long 0xD8EC08A0, 0x4A0000ED
.long 0x85622F3C
	;; [unrolled: 3-line block ×18, first 2 shown]
.long 0xD3CD8048, 0x05220930
.long 0xD8EC1140, 0x6C0000ED
	;; [unrolled: 1-line block ×86, first 2 shown]
.long 0xBF8CCF7F
.long 0xD3CD8000, 0x0403DD48
.long 0xD1ED0002, 0x010A1914
	;; [unrolled: 1-line block ×22, first 2 shown]
.long 0xBF8CC07F
.long 0xBF8A0000
.long 0xD3CD8020, 0x0483DD4C
.long 0xBF8C4F7F
.long 0xD89A0000, 0x0000ACA9
.long 0xD3CD8024, 0x0493E14C
.long 0xD3CD8028, 0x04A3E54C
.long 0xD3CD802C, 0x04B3E94C
.long 0xD3CD8030, 0x04C3DD4E
.long 0xD3CD8034, 0x04D3E14E
.long 0xBF8C4F7E
.long 0xD89A0220, 0x0000AEA9
.long 0xD3CD8038, 0x04E3E54E
.long 0xD3CD803C, 0x04F3E94E
.long 0xD3CD8040, 0x0503DD50
.long 0xD3CD8044, 0x0513E150
	;; [unrolled: 7-line block ×11, first 2 shown]
.long 0xD3CD80FC, 0x07F3E966
.long 0xBF8C4F74
.long 0xD89A1760, 0x0000C2A9
.long 0xBF8CCC7F
.long 0xD3CD8000, 0x04020168
.long 0xD3CD8004, 0x04120568
.long 0xD3CD8008, 0x04220968
.long 0xD3CD800C, 0x04320D68
.long 0xD3CD8010, 0x0442016A
.long 0xBF8C4F73
.long 0xD89A1980, 0x0000C4A9
.long 0xD3CD8014, 0x0452056A
.long 0xD3CD8018, 0x0462096A
.long 0xD3CD801C, 0x04720D6A
.long 0xD3CD8020, 0x0482016C
.long 0xD3CD8024, 0x0492056C
.long 0xBF8C4F72
.long 0xD89A1BA0, 0x0000C6A9
	;; [unrolled: 7-line block ×4, first 2 shown]
.long 0xD3CD8050, 0x05420172
.long 0xD3CD8054, 0x05520572
.long 0xD3CD8058, 0x05620972
.long 0xD3CD805C, 0x05720D72
.long 0xD3CD8060, 0x05820174
.long 0xBF8C0F7F
.long 0x7E1071CC
.long 0xD3CD8064, 0x05920574
.long 0xD3CD8068, 0x05A20974
.long 0xD3CD806C, 0x05B20D74
.long 0xD3CD8070, 0x05C20176
.long 0xD3CD8074, 0x05D20576
.long 0xBF8C0F7E
.long 0x7E2071CE
	;; [unrolled: 7-line block ×8, first 2 shown]
.long 0xD3CD80F0, 0x07C20186
.long 0xD3CD80F4, 0x07D20586
	;; [unrolled: 1-line block ×4, first 2 shown]
.long 0xBF8CCD7F
.long 0xD3CD8000, 0x0403ED88
.long 0xBF8C0F77
.long 0x7E1871DC
.long 0xD3CD8004, 0x0413F188
.long 0xD3CD8008, 0x0423F588
.long 0xD3CD800C, 0x0433F988
.long 0xD3CD8010, 0x0443ED8A
.long 0xD3CD8014, 0x0453F18A
.long 0xBF8C0F76
.long 0x7E2871DE
.long 0xD3CD8018, 0x0463F58A
.long 0xD3CD801C, 0x0473F98A
.long 0xD3CD8020, 0x0483ED8C
.long 0xD3CD8024, 0x0493F18C
	;; [unrolled: 7-line block ×8, first 2 shown]
.long 0xD3CD80A0, 0x0683ED9C
.long 0xD3CD80A4, 0x0693F19C
	;; [unrolled: 1-line block ×3, first 2 shown]
.long 0xBF8CC07F
.long 0xBF8A0000
.long 0xD3CD80AC, 0x06B3F99C
.long 0xD8EC0000, 0x280000ED
	;; [unrolled: 1-line block ×45, first 2 shown]
.long 0xBF06812E
.long 0xBF840F24
	;; [unrolled: 1-line block ×5, first 2 shown]
.long 0x816484FF, 0x00003C80
.long 0x80626462
.long 0x82638063
.long 0xBE801D62
.long 0xBF06F22C
.long 0xBF850006
.long 0xBEE21C00
.long 0x816484FF, 0x00003C60
.long 0x80626462
.long 0x82638063
.long 0xBE801D62
.long 0x866218FF, 0x000000FF
.long 0x80630DC1
.long 0xBF096302
.long 0x85628062
.long 0xB5620000
.long 0xBF840006
.long 0xBEE21C00
.long 0x816484FF, 0x00003C2C
.long 0x80626462
.long 0x82638063
.long 0xBE801D62
	;; [unrolled: 11-line block ×3, first 2 shown]
.long 0x86631BBF
.long 0xBF068063
.long 0xBF850006
.long 0xBEE21C00
.long 0x816484FF, 0x00003BD4
.long 0x80626462
.long 0x82638063
	;; [unrolled: 1-line block ×4, first 2 shown]
.long 0xD3CD8000, 0x04020128
.long 0xD8EC0020, 0x480000ED
	;; [unrolled: 1-line block ×122, first 2 shown]
.long 0xBF8CCF7F
.long 0xD3CD8000, 0x0403DD48
.long 0xD1ED0002, 0x010A1914
	;; [unrolled: 1-line block ×78, first 2 shown]
.long 0xBF8CC07F
.long 0xD3CD8000, 0x04020168
.long 0xD3CD8004, 0x04120568
	;; [unrolled: 1-line block ×64, first 2 shown]
.long 0xBF8CC07F
.long 0xD3CD8000, 0x0403ED88
.long 0xD3CD8004, 0x0413F188
	;; [unrolled: 1-line block ×64, first 2 shown]
.long 0xBF128006
.long 0xBF840005
.long 0xC00E0C00, 0x00000058
.long 0xC0020E00, 0x00000078
.long 0xBF820008
.long 0xC00A0C03, 0x00000090
.long 0xC0060D03, 0x000000A0
	;; [unrolled: 1-line block ×4, first 2 shown]
.long 0x2009FC86
.long 0x200A0882
.long 0xD2850005, 0x00020A90
.long 0x2603FCBF
.long 0x20020284
	;; [unrolled: 1-line block ×3, first 2 shown]
.long 0xD1FE0001, 0x02020305
.long 0xD2850002, 0x00004D01
	;; [unrolled: 1-line block ×3, first 2 shown]
.long 0x26000883
.long 0xD2850000, 0x00020090
.long 0x260BFC8F
.long 0xD1FE0000, 0x020A0105
.long 0x920502FF, 0x00000100
.long 0x68000005
.long 0x920503FF, 0x00000100
.long 0x68020205
.long 0xBF8CC07F
	;; [unrolled: 1-line block ×4, first 2 shown]
.long 0xBEBF00FF, 0x00020000
.long 0xBF128030
.long 0xBF840002
	;; [unrolled: 1-line block ×12, first 2 shown]
.long 0xBEC300FF, 0x00020000
.long 0xBF128032
.long 0xBF840002
.long 0xBEC20080
.long 0xBF820001
.long 0xBEC20005
.long 0xB4B40000
.long 0xBF85000F
.long 0x92424284
.long 0x920502FF, 0x00000100
.long 0x6811FC05
.long 0x92050435
	;; [unrolled: 1-line block ×4, first 2 shown]
.long 0xE0501000, 0x80100408
.long 0x2411FC82
.long 0xBF8C0F70
.long 0xBF8A0000
.long 0xD81A0000, 0x00000408
.long 0xBF820012
.long 0xB4B40004
.long 0xBF850010
.long 0x92424282
.long 0x920502FF, 0x00000100
.long 0x6811FC05
	;; [unrolled: 5-line block ×4, first 2 shown]
.long 0xB4380001
.long 0xBF850014
	;; [unrolled: 1-line block ×17, first 2 shown]
.long 0x810584FF, 0x0001819C
.long 0x803A053A
.long 0x823B803B
.long 0xBF820030
.long 0xBEBA1C00
.long 0x810584FF, 0x00018188
.long 0x803A053A
.long 0x823B803B
.long 0xBF82002A
.long 0xBEBA1C00
	;; [unrolled: 5-line block ×8, first 2 shown]
.long 0x810584FF, 0x000183DC
.long 0x803A053A
.long 0x823B803B
	;; [unrolled: 1-line block ×3, first 2 shown]
.long 0x924602FF, 0x00000100
.long 0xD135000B, 0x00008D00
.long 0x24161682
.long 0xBF8CC07F
	;; [unrolled: 1-line block ×3, first 2 shown]
.long 0xD9FE0000, 0x1000000B
.long 0x24180082
.long 0xE05C1000, 0x800F140C
.long 0xD1FE0009, 0x02060103
	;; [unrolled: 1-line block ×66, first 2 shown]
.long 0xBF800001
.long 0xBF8C0000
.long 0xD0CC0030, 0x0001003E
.long 0xD1000014, 0x00C228F2
	;; [unrolled: 1-line block ×10, first 2 shown]
.long 0xBEC41E3A
.long 0x7E300304
	;; [unrolled: 1-line block ×7, first 2 shown]
.long 0xD2A00018, 0x00023318
.long 0x7E34151A
.long 0x7E36151B
.long 0xD2A00019, 0x0002371A
.long 0xE0741000, 0x80041809
.long 0xD0CC0030, 0x0001003E
.long 0xD1000014, 0x00C228F2
.long 0xD1000015, 0x00C22AF2
.long 0xD3B1401C, 0x18023914
.long 0xD0CC0030, 0x0001003E
.long 0xD1000016, 0x00C22CF2
.long 0xD1000017, 0x00C22EF2
.long 0xD3B1401E, 0x18023D16
.long 0xD3B24004, 0x18023910
.long 0xD3B24006, 0x18023D12
.long 0xBEC41E3A
.long 0x7E380304
.long 0x7E3A0305
.long 0x7E3C0306
.long 0x7E3E0307
.long 0x7E38151C
.long 0x7E3A151D
.long 0xD2A0001C, 0x00023B1C
.long 0x7E3C151E
.long 0x7E3E151F
.long 0xD2A0001D, 0x00023F1E
.long 0x8E468124
.long 0x80104610
.long 0x82118011
.long 0xE0741000, 0x80041C09
.long 0xD0CC0030, 0x0001003E
.long 0xD1000014, 0x00C228F2
.long 0xD1000015, 0x00C22AF2
.long 0xD3B14020, 0x18024114
.long 0xD0CC0030, 0x0001003E
.long 0xD1000016, 0x00C22CF2
.long 0xD1000017, 0x00C22EF2
.long 0xD3B14022, 0x18024516
.long 0xD3B24004, 0x18024110
.long 0xD3B24006, 0x18024512
.long 0xBEC41E3A
.long 0x7E400304
.long 0x7E420305
.long 0x7E440306
.long 0x7E460307
.long 0x7E401520
.long 0x7E421521
.long 0xD2A00020, 0x00024320
.long 0x7E441522
.long 0x7E461523
.long 0xD2A00021, 0x00024722
.long 0x8E468124
.long 0x80104610
.long 0x82118011
.long 0xE0741000, 0x80042009
.long 0xD0CC0030, 0x0001003E
.long 0xD1000014, 0x00C228F2
.long 0xD1000015, 0x00C22AF2
.long 0xD3B14024, 0x18024914
.long 0xD0CC0030, 0x0001003E
.long 0xD1000016, 0x00C22CF2
.long 0xD1000017, 0x00C22EF2
.long 0xD3B14026, 0x18024D16
.long 0xD3B24004, 0x18024910
.long 0xD3B24006, 0x18024D12
	;; [unrolled: 25-line block ×14, first 2 shown]
.long 0xBEC41E3A
.long 0x7EA80304
	;; [unrolled: 1-line block ×7, first 2 shown]
.long 0xD2A00054, 0x0002AB54
.long 0x7EAC1556
.long 0x7EAE1557
.long 0xD2A00055, 0x0002AF56
.long 0x8E468124
.long 0x80104610
	;; [unrolled: 1-line block ×3, first 2 shown]
.long 0xE0741000, 0x80045409
.long 0xBF800000
.long 0x924602FF, 0x00000100
.long 0xD135000B, 0x00008D00
.long 0x24161682
.long 0xD9FE0000, 0x1000000B
.long 0xE05C1000, 0x800F140C
	;; [unrolled: 1-line block ×66, first 2 shown]
.long 0xBF800001
.long 0xBF8C0000
.long 0xD0CC0030, 0x0001003E
.long 0xD1000014, 0x00C228F2
.long 0xD1000015, 0x00C22AF2
.long 0xD3B14018, 0x18023114
.long 0xD0CC0030, 0x0001003E
.long 0xD1000016, 0x00C22CF2
.long 0xD1000017, 0x00C22EF2
.long 0xD3B1401A, 0x18023516
.long 0xD3B24004, 0x18023110
.long 0xD3B24006, 0x18023512
.long 0xBEC41E3A
.long 0x7E300304
.long 0x7E320305
.long 0x7E340306
.long 0x7E360307
.long 0x7E301518
.long 0x7E321519
.long 0xD2A00018, 0x00023318
.long 0x7E34151A
.long 0x7E36151B
.long 0xD2A00019, 0x0002371A
.long 0x92469A24
.long 0x80104610
.long 0x82118011
.long 0xE0741000, 0x80041809
.long 0xD0CC0030, 0x0001003E
.long 0xD1000014, 0x00C228F2
.long 0xD1000015, 0x00C22AF2
.long 0xD3B1401C, 0x18023914
.long 0xD0CC0030, 0x0001003E
.long 0xD1000016, 0x00C22CF2
.long 0xD1000017, 0x00C22EF2
.long 0xD3B1401E, 0x18023D16
.long 0xD3B24004, 0x18023910
.long 0xD3B24006, 0x18023D12
.long 0xBEC41E3A
.long 0x7E380304
.long 0x7E3A0305
.long 0x7E3C0306
.long 0x7E3E0307
.long 0x7E38151C
.long 0x7E3A151D
.long 0xD2A0001C, 0x00023B1C
.long 0x7E3C151E
.long 0x7E3E151F
.long 0xD2A0001D, 0x00023F1E
.long 0x8E468124
.long 0x80104610
.long 0x82118011
.long 0xE0741000, 0x80041C09
	;; [unrolled: 25-line block ×16, first 2 shown]
.long 0xBF800000
.long 0x924602FF, 0x00000100
.long 0xD135000B, 0x00008D00
.long 0x24161682
.long 0xD9FE0000, 0x1000000B
.long 0xE05C1000, 0x800F140C
	;; [unrolled: 1-line block ×66, first 2 shown]
.long 0xBF800001
.long 0xBF8C0000
.long 0xD0CC0030, 0x0001003E
.long 0xD1000014, 0x00C228F2
.long 0xD1000015, 0x00C22AF2
.long 0xD3B14018, 0x18023114
.long 0xD0CC0030, 0x0001003E
.long 0xD1000016, 0x00C22CF2
.long 0xD1000017, 0x00C22EF2
.long 0xD3B1401A, 0x18023516
.long 0xD3B24004, 0x18023110
.long 0xD3B24006, 0x18023512
.long 0xBEC41E3A
.long 0x7E300304
.long 0x7E320305
.long 0x7E340306
.long 0x7E360307
.long 0x7E301518
.long 0x7E321519
.long 0xD2A00018, 0x00023318
.long 0x7E34151A
.long 0x7E36151B
.long 0xD2A00019, 0x0002371A
.long 0x92469A24
.long 0x80104610
.long 0x82118011
.long 0xE0741000, 0x80041809
.long 0xD0CC0030, 0x0001003E
.long 0xD1000014, 0x00C228F2
.long 0xD1000015, 0x00C22AF2
.long 0xD3B1401C, 0x18023914
.long 0xD0CC0030, 0x0001003E
.long 0xD1000016, 0x00C22CF2
.long 0xD1000017, 0x00C22EF2
.long 0xD3B1401E, 0x18023D16
.long 0xD3B24004, 0x18023910
.long 0xD3B24006, 0x18023D12
.long 0xBEC41E3A
.long 0x7E380304
.long 0x7E3A0305
.long 0x7E3C0306
.long 0x7E3E0307
.long 0x7E38151C
.long 0x7E3A151D
.long 0xD2A0001C, 0x00023B1C
.long 0x7E3C151E
.long 0x7E3E151F
.long 0xD2A0001D, 0x00023F1E
.long 0x8E468124
.long 0x80104610
.long 0x82118011
.long 0xE0741000, 0x80041C09
	;; [unrolled: 25-line block ×16, first 2 shown]
.long 0xBF800000
.long 0x924602FF, 0x00000100
.long 0xD135000B, 0x00008D00
.long 0x24161682
.long 0xD9FE0000, 0x1000000B
.long 0xE05C1000, 0x800F140C
	;; [unrolled: 1-line block ×66, first 2 shown]
.long 0xBF800001
.long 0xBF8C0000
.long 0xD0CC0030, 0x0001003E
.long 0xD1000014, 0x00C228F2
.long 0xD1000015, 0x00C22AF2
.long 0xD3B14018, 0x18023114
.long 0xD0CC0030, 0x0001003E
.long 0xD1000016, 0x00C22CF2
.long 0xD1000017, 0x00C22EF2
.long 0xD3B1401A, 0x18023516
.long 0xD3B24004, 0x18023110
.long 0xD3B24006, 0x18023512
.long 0xBEC41E3A
.long 0x7E300304
.long 0x7E320305
.long 0x7E340306
.long 0x7E360307
.long 0x7E301518
.long 0x7E321519
.long 0xD2A00018, 0x00023318
.long 0x7E34151A
.long 0x7E36151B
.long 0xD2A00019, 0x0002371A
.long 0x92469A24
.long 0x80104610
.long 0x82118011
.long 0xE0741000, 0x80041809
.long 0xD0CC0030, 0x0001003E
.long 0xD1000014, 0x00C228F2
.long 0xD1000015, 0x00C22AF2
.long 0xD3B1401C, 0x18023914
.long 0xD0CC0030, 0x0001003E
.long 0xD1000016, 0x00C22CF2
.long 0xD1000017, 0x00C22EF2
.long 0xD3B1401E, 0x18023D16
.long 0xD3B24004, 0x18023910
.long 0xD3B24006, 0x18023D12
.long 0xBEC41E3A
.long 0x7E380304
.long 0x7E3A0305
.long 0x7E3C0306
.long 0x7E3E0307
.long 0x7E38151C
.long 0x7E3A151D
.long 0xD2A0001C, 0x00023B1C
.long 0x7E3C151E
.long 0x7E3E151F
.long 0xD2A0001D, 0x00023F1E
.long 0x8E468124
.long 0x80104610
.long 0x82118011
.long 0xE0741000, 0x80041C09
	;; [unrolled: 25-line block ×16, first 2 shown]
.long 0xBF800000
.long 0xBF820000
	;; [unrolled: 1-line block ×4, first 2 shown]
.long 0xD3CD8000, 0x04020128
.long 0xD8EC0020, 0x480000ED
	;; [unrolled: 1-line block ×122, first 2 shown]
.long 0xBF8CCF7F
.long 0xD3CD8000, 0x0403DD48
.long 0xD1ED0002, 0x010A1914
	;; [unrolled: 1-line block ×78, first 2 shown]
.long 0xBF8CC07F
.long 0xD3CD8000, 0x04020168
.long 0xD3CD8004, 0x04120568
	;; [unrolled: 1-line block ×62, first 2 shown]
.long 0xBF8CC07F
.long 0xBF8A0000
.long 0xD3CD80F8, 0x07E20986
.long 0xD3CD80FC, 0x07F20D86
.long 0xBF8CC07F
.long 0xD3CD8000, 0x0403ED88
.long 0xD3CD8004, 0x0413F188
	;; [unrolled: 1-line block ×64, first 2 shown]
.long 0x860B1BBF
.long 0xBF070908
	;; [unrolled: 1-line block ×28, first 2 shown]
.long 0xE0901000, 0x800CACAA
.long 0xE0941002, 0x800C00AA
.long 0xBF8C0F70
.long 0x295801AC
.long 0xE0901004, 0x800CADAA
.long 0xE0941006, 0x800C00AA
.long 0xBF8C0F70
.long 0x295A01AD
.long 0xE0901000, 0x430CAEAA
.long 0xE0941002, 0x430C00AA
.long 0xBF8C0F70
.long 0x295C01AE
.long 0xE0901004, 0x430CAFAA
.long 0xE0941006, 0x430C00AA
.long 0xBF8C0F70
.long 0x295E01AF
.long 0xE0901000, 0x440CB0AA
.long 0xE0941002, 0x440C00AA
.long 0xBF8C0F70
.long 0x296001B0
.long 0xE0901004, 0x440CB1AA
.long 0xE0941006, 0x440C00AA
.long 0xBF8C0F70
.long 0x296201B1
.long 0xE0901000, 0x450CB2AA
.long 0xE0941002, 0x450C00AA
.long 0xBF8C0F70
.long 0x296401B2
.long 0xE0901004, 0x450CB3AA
.long 0xE0941006, 0x450C00AA
.long 0xBF8C0F70
.long 0x296601B3
.long 0xE0901000, 0x460CB4AA
.long 0xE0941002, 0x460C00AA
.long 0xBF8C0F70
.long 0x296801B4
.long 0xE0901004, 0x460CB5AA
.long 0xE0941006, 0x460C00AA
.long 0xBF8C0F70
.long 0x296A01B5
.long 0xE0901000, 0x470CB6AA
.long 0xE0941002, 0x470C00AA
.long 0xBF8C0F70
.long 0x296C01B6
.long 0xE0901004, 0x470CB7AA
.long 0xE0941006, 0x470C00AA
.long 0xBF8C0F70
.long 0x296E01B7
.long 0xE0901000, 0x480CB8AA
.long 0xE0941002, 0x480C00AA
.long 0xBF8C0F70
.long 0x297001B8
.long 0xE0901004, 0x480CB9AA
.long 0xE0941006, 0x480C00AA
.long 0xBF8C0F70
.long 0x297201B9
.long 0xE0901000, 0x490CBAAA
.long 0xE0941002, 0x490C00AA
.long 0xBF8C0F70
.long 0x297401BA
.long 0xE0901004, 0x490CBBAA
.long 0xE0941006, 0x490C00AA
.long 0xBF8C0F70
.long 0x297601BB
.long 0xE0901000, 0x4A0CBCAA
.long 0xE0941002, 0x4A0C00AA
.long 0xBF8C0F70
.long 0x297801BC
.long 0xE0901004, 0x4A0CBDAA
.long 0xE0941006, 0x4A0C00AA
.long 0xBF8C0F70
.long 0x297A01BD
.long 0xE0901000, 0x4B0CBEAA
.long 0xE0941002, 0x4B0C00AA
.long 0xBF8C0F70
.long 0x297C01BE
.long 0xE0901004, 0x4B0CBFAA
.long 0xE0941006, 0x4B0C00AA
.long 0xBF8C0F70
.long 0x297E01BF
.long 0xE0901000, 0x4C0CC0AA
.long 0xE0941002, 0x4C0C00AA
.long 0xBF8C0F70
.long 0x298001C0
.long 0xE0901004, 0x4C0CC1AA
.long 0xE0941006, 0x4C0C00AA
.long 0xBF8C0F70
.long 0x298201C1
.long 0xE0901000, 0x4D0CC2AA
.long 0xE0941002, 0x4D0C00AA
.long 0xBF8C0F70
.long 0x298401C2
.long 0xE0901004, 0x4D0CC3AA
.long 0xE0941006, 0x4D0C00AA
.long 0xBF8C0F70
.long 0x298601C3
.long 0xE0901000, 0x4E0CC4AA
.long 0xE0941002, 0x4E0C00AA
.long 0xBF8C0F70
.long 0x298801C4
.long 0xE0901004, 0x4E0CC5AA
.long 0xE0941006, 0x4E0C00AA
.long 0xBF8C0F70
.long 0x298A01C5
.long 0xE0901000, 0x4F0CC6AA
.long 0xE0941002, 0x4F0C00AA
.long 0xBF8C0F70
.long 0x298C01C6
.long 0xE0901004, 0x4F0CC7AA
.long 0xE0941006, 0x4F0C00AA
.long 0xBF8C0F70
.long 0x298E01C7
.long 0xE0901000, 0x500CC8AA
.long 0xE0941002, 0x500C00AA
.long 0xBF8C0F70
.long 0x299001C8
.long 0xE0901004, 0x500CC9AA
.long 0xE0941006, 0x500C00AA
.long 0xBF8C0F70
.long 0x299201C9
.long 0xE0901000, 0x510CCAAA
.long 0xE0941002, 0x510C00AA
.long 0xBF8C0F70
.long 0x299401CA
.long 0xE0901004, 0x510CCBAA
.long 0xE0941006, 0x510C00AA
.long 0xBF8C0F70
.long 0x299601CB
.long 0xE0901000, 0x800DCCAB
.long 0xE0941002, 0x800D00AB
.long 0xBF8C0F70
.long 0x299801CC
.long 0xE0901004, 0x800DCDAB
.long 0xE0941006, 0x800D00AB
.long 0xBF8C0F70
.long 0x299A01CD
.long 0xE0901000, 0x520DCEAB
.long 0xE0941002, 0x520D00AB
.long 0xBF8C0F70
.long 0x299C01CE
.long 0xE0901004, 0x520DCFAB
.long 0xE0941006, 0x520D00AB
.long 0xBF8C0F70
.long 0x299E01CF
.long 0xE0901000, 0x530DD0AB
.long 0xE0941002, 0x530D00AB
.long 0xBF8C0F70
.long 0x29A001D0
.long 0xE0901004, 0x530DD1AB
.long 0xE0941006, 0x530D00AB
.long 0xBF8C0F70
.long 0x29A201D1
.long 0xE0901000, 0x540DD2AB
.long 0xE0941002, 0x540D00AB
.long 0xBF8C0F70
.long 0x29A401D2
.long 0xE0901004, 0x540DD3AB
.long 0xE0941006, 0x540D00AB
.long 0xBF8C0F70
.long 0x29A601D3
.long 0xE0901000, 0x550DD4AB
.long 0xE0941002, 0x550D00AB
.long 0xBF8C0F70
.long 0x29A801D4
.long 0xE0901004, 0x550DD5AB
.long 0xE0941006, 0x550D00AB
.long 0xBF8C0F70
.long 0x29AA01D5
.long 0xE0901000, 0x560DD6AB
.long 0xE0941002, 0x560D00AB
.long 0xBF8C0F70
.long 0x29AC01D6
.long 0xE0901004, 0x560DD7AB
.long 0xE0941006, 0x560D00AB
.long 0xBF8C0F70
.long 0x29AE01D7
.long 0xE0901000, 0x570DD8AB
.long 0xE0941002, 0x570D00AB
.long 0xBF8C0F70
.long 0x29B001D8
.long 0xE0901004, 0x570DD9AB
.long 0xE0941006, 0x570D00AB
.long 0xBF8C0F70
.long 0x29B201D9
.long 0xE0901000, 0x580DDAAB
.long 0xE0941002, 0x580D00AB
.long 0xBF8C0F70
.long 0x29B401DA
.long 0xE0901004, 0x580DDBAB
.long 0xE0941006, 0x580D00AB
.long 0xBF8C0F70
.long 0x29B601DB
.long 0xE0901000, 0x590DDCAB
.long 0xE0941002, 0x590D00AB
.long 0xBF8C0F70
.long 0x29B801DC
.long 0xE0901004, 0x590DDDAB
.long 0xE0941006, 0x590D00AB
.long 0xBF8C0F70
.long 0x29BA01DD
.long 0xE0901000, 0x5A0DDEAB
.long 0xE0941002, 0x5A0D00AB
.long 0xBF8C0F70
.long 0x29BC01DE
.long 0xE0901004, 0x5A0DDFAB
.long 0xE0941006, 0x5A0D00AB
.long 0xBF8C0F70
.long 0x29BE01DF
.long 0xE0901000, 0x5B0DE0AB
.long 0xE0941002, 0x5B0D00AB
.long 0xBF8C0F70
.long 0x29C001E0
.long 0xE0901004, 0x5B0DE1AB
.long 0xE0941006, 0x5B0D00AB
.long 0xBF8C0F70
.long 0x29C201E1
.long 0xE0901000, 0x5C0DE2AB
.long 0xE0941002, 0x5C0D00AB
.long 0xBF8C0F70
.long 0x29C401E2
.long 0xE0901004, 0x5C0DE3AB
.long 0xE0941006, 0x5C0D00AB
.long 0xBF8C0F70
.long 0x29C601E3
.long 0xE0901000, 0x5D0DE4AB
.long 0xE0941002, 0x5D0D00AB
.long 0xBF8C0F70
.long 0x29C801E4
.long 0xE0901004, 0x5D0DE5AB
.long 0xE0941006, 0x5D0D00AB
.long 0xBF8C0F70
.long 0x29CA01E5
.long 0xE0901000, 0x5E0DE6AB
.long 0xE0941002, 0x5E0D00AB
.long 0xBF8C0F70
.long 0x29CC01E6
.long 0xE0901004, 0x5E0DE7AB
.long 0xE0941006, 0x5E0D00AB
.long 0xBF8C0F70
.long 0x29CE01E7
.long 0xE0901000, 0x5F0DE8AB
.long 0xE0941002, 0x5F0D00AB
.long 0xBF8C0F70
.long 0x29D001E8
.long 0xE0901004, 0x5F0DE9AB
.long 0xE0941006, 0x5F0D00AB
.long 0xBF8C0F70
.long 0x29D201E9
.long 0xE0901000, 0x600DEAAB
.long 0xE0941002, 0x600D00AB
.long 0xBF8C0F70
.long 0x29D401EA
.long 0xE0901004, 0x600DEBAB
.long 0xE0941006, 0x600D00AB
.long 0xBF8C0F70
.long 0x29D601EB
.long 0xBF8C0F70
.long 0xBF8A0000
	;; [unrolled: 1-line block ×18, first 2 shown]
.long 0xD89A0000, 0x0000CCA9
.long 0xD89A0220, 0x0000CEA9
.long 0xD89A0440, 0x0000D0A9
.long 0xD89A0660, 0x0000D2A9
.long 0xD89A0880, 0x0000D4A9
.long 0xD89A0AA0, 0x0000D6A9
.long 0xD89A0CC0, 0x0000D8A9
.long 0xD89A0EE0, 0x0000DAA9
.long 0xD89A1100, 0x0000DCA9
.long 0xD89A1320, 0x0000DEA9
.long 0xD89A1540, 0x0000E0A9
.long 0xD89A1760, 0x0000E2A9
.long 0xD89A1980, 0x0000E4A9
.long 0xD89A1BA0, 0x0000E6A9
.long 0xD89A1DC0, 0x0000E8A9
.long 0xD89A1FE0, 0x0000EAA9
.long 0xBF8CC07F
.long 0xBF8A0000
.long 0xD8EC0000, 0x280000ED
.long 0xD8EC0880, 0x2A0000ED
.long 0xD8EC1100, 0x2C0000ED
.long 0xD8EC1980, 0x2E0000ED
.long 0xD8EC2200, 0x300000ED
.long 0xD8EC2A80, 0x320000ED
.long 0xD8EC3300, 0x340000ED
.long 0xD8EC3B80, 0x360000ED
.long 0xD8EC4400, 0x380000ED
.long 0xD8EC4C80, 0x3A0000ED
.long 0xD8EC5500, 0x3C0000ED
.long 0xD8EC5D80, 0x3E0000ED
.long 0xD8EC6600, 0x400000ED
.long 0xD8EC6E80, 0x420000ED
.long 0xD8EC7700, 0x440000ED
.long 0xD8EC7F80, 0x460000ED
.long 0xBE8500A0
.long 0x33DBDA05
.long 0xD1ED0000, 0x01061110
.long 0xD1ED0001, 0x01063120
	;; [unrolled: 1-line block ×8, first 2 shown]
.long 0x7E10710A
.long 0x7E207112
	;; [unrolled: 1-line block ×16, first 2 shown]
.long 0xD0C60062, 0x000017A8
.long 0xD1000000, 0x01890100
	;; [unrolled: 1-line block ×41, first 2 shown]
.long 0x6B51500B
.long 0xD0C10062, 0x000109A8
.long 0x8661830B
.long 0x80E16184
.long 0x8E618461
.long 0xD28F00AA, 0x00020061
.long 0xD1000000, 0x018B5500
	;; [unrolled: 1-line block ×60, first 2 shown]
.long 0xBF800001
.long 0xD3CD8000, 0x04020128
.long 0xD3CD8004, 0x04120528
.long 0xD3CD8008, 0x04220928
.long 0xD3CD800C, 0x04320D28
.long 0xD3CD8010, 0x0442012A
.long 0xD3CD8014, 0x0452052A
.long 0xD3CD8018, 0x0462092A
.long 0xD3CD801C, 0x04720D2A
.long 0xD3CD8020, 0x0482012C
.long 0xD3CD8024, 0x0492052C
.long 0xD3CD8028, 0x04A2092C
.long 0xD3CD802C, 0x04B20D2C
.long 0xD3CD8030, 0x04C2012E
.long 0xD3CD8034, 0x04D2052E
.long 0xD3CD8038, 0x04E2092E
.long 0xD3CD803C, 0x04F20D2E
.long 0xD3CD8040, 0x05020130
.long 0xD3CD8044, 0x05120530
.long 0xD3CD8048, 0x05220930
.long 0xD3CD804C, 0x05320D30
.long 0xD3CD8050, 0x05420132
.long 0xD3CD8054, 0x05520532
.long 0xD3CD8058, 0x05620932
.long 0xD3CD805C, 0x05720D32
.long 0xD3CD8060, 0x05820134
.long 0xD3CD8064, 0x05920534
.long 0xD3CD8068, 0x05A20934
.long 0xD3CD806C, 0x05B20D34
.long 0xD3CD8070, 0x05C20136
.long 0xD3CD8074, 0x05D20536
.long 0xD3CD8078, 0x05E20936
.long 0xD3CD807C, 0x05F20D36
.long 0xD3CD8080, 0x06020138
.long 0xD3CD8084, 0x06120538
.long 0xD3CD8088, 0x06220938
.long 0xD3CD808C, 0x06320D38
.long 0xD3CD8090, 0x0642013A
.long 0xD3CD8094, 0x0652053A
.long 0xD3CD8098, 0x0662093A
.long 0xD3CD809C, 0x06720D3A
.long 0xD3CD80A0, 0x0682013C
.long 0xD3CD80A4, 0x0692053C
.long 0xD3CD80A8, 0x06A2093C
.long 0xD3CD80AC, 0x06B20D3C
.long 0xD3CD80B0, 0x06C2013E
.long 0xD3CD80B4, 0x06D2053E
.long 0xD3CD80B8, 0x06E2093E
.long 0xD3CD80BC, 0x06F20D3E
.long 0xD3CD80C0, 0x07020140
.long 0xD3CD80C4, 0x07120540
.long 0xD3CD80C8, 0x07220940
.long 0xD3CD80CC, 0x07320D40
.long 0xD3CD80D0, 0x07420142
.long 0xD3CD80D4, 0x07520542
.long 0xD3CD80D8, 0x07620942
.long 0xD3CD80DC, 0x07720D42
.long 0xD3CD80E0, 0x07820144
.long 0xD3CD80E4, 0x07920544
.long 0xD3CD80E8, 0x07A20944
.long 0xD3CD80EC, 0x07B20D44
.long 0xD3CD80F0, 0x07C20146
.long 0xD3CD80F4, 0x07D20546
.long 0xD3CD80F8, 0x07E20946
.long 0xD3CD80FC, 0x07F20D46
.long 0x818B900B
.long 0x800C900C
	;; [unrolled: 1-line block ×8, first 2 shown]
.long 0xC00E0C00, 0x00000058
.long 0xC0020E00, 0x00000078
.long 0xBF820008
.long 0xC00A0C03, 0x00000090
.long 0xC0060D03, 0x000000A0
	;; [unrolled: 1-line block ×4, first 2 shown]
.long 0x2009FC86
.long 0x200A0882
.long 0xD2850005, 0x00020A90
.long 0x2603FCBF
.long 0x20020284
.long 0x24020282
.long 0xD1FE0001, 0x02020305
.long 0xD2850002, 0x00004D01
	;; [unrolled: 1-line block ×3, first 2 shown]
.long 0x26000883
.long 0xD2850000, 0x00020090
.long 0x260BFC8F
.long 0xD1FE0000, 0x020A0105
.long 0x920502FF, 0x00000100
.long 0x68000005
.long 0x920503FF, 0x00000100
.long 0x68020205
.long 0xBF8CC07F
.long 0xBF06812E
.long 0xBF8509C5
.long 0x864418FF, 0x000000FF
.long 0x80450DC1
.long 0xBF094502
	;; [unrolled: 1-line block ×5, first 2 shown]
.long 0x864419FF, 0x000000FF
.long 0x80450EC1
.long 0xBF094503
	;; [unrolled: 1-line block ×5, first 2 shown]
.long 0xD1FE0006, 0x020A0103
.long 0xD3D84008, 0x18000100
	;; [unrolled: 1-line block ×65, first 2 shown]
.long 0xBF800001
.long 0xE07C1000, 0x80040806
.long 0x8E3A8224
.long 0x80103A10
.long 0x82118011
.long 0xE07C1000, 0x80040C06
.long 0x8E3A8224
.long 0x80103A10
	;; [unrolled: 4-line block ×15, first 2 shown]
.long 0x82118011
.long 0xE07C1000, 0x80044406
.long 0xBF800000
.long 0xD3D84008, 0x18000140
.long 0xD3D84009, 0x18000144
	;; [unrolled: 1-line block ×64, first 2 shown]
.long 0xBF800001
.long 0x923AB424
	;; [unrolled: 1-line block ×4, first 2 shown]
.long 0xE07C1000, 0x80040806
.long 0x8E3A8224
.long 0x80103A10
.long 0x82118011
.long 0xE07C1000, 0x80040C06
.long 0x8E3A8224
.long 0x80103A10
.long 0x82118011
	;; [unrolled: 4-line block ×15, first 2 shown]
.long 0xE07C1000, 0x80044406
.long 0xBF800000
.long 0xD3D84008, 0x18000180
.long 0xD3D84009, 0x18000184
	;; [unrolled: 1-line block ×64, first 2 shown]
.long 0xBF800001
.long 0x923AB424
	;; [unrolled: 1-line block ×4, first 2 shown]
.long 0xE07C1000, 0x80040806
.long 0x8E3A8224
.long 0x80103A10
.long 0x82118011
.long 0xE07C1000, 0x80040C06
.long 0x8E3A8224
.long 0x80103A10
.long 0x82118011
	;; [unrolled: 4-line block ×15, first 2 shown]
.long 0xE07C1000, 0x80044406
.long 0xBF800000
.long 0xD3D84008, 0x180001C0
.long 0xD3D84009, 0x180001C4
	;; [unrolled: 1-line block ×64, first 2 shown]
.long 0xBF800001
.long 0x923AB424
.long 0x80103A10
.long 0x82118011
.long 0xE07C1000, 0x80040806
.long 0x8E3A8224
.long 0x80103A10
.long 0x82118011
.long 0xE07C1000, 0x80040C06
.long 0x8E3A8224
.long 0x80103A10
.long 0x82118011
	;; [unrolled: 4-line block ×15, first 2 shown]
.long 0xE07C1000, 0x80044406
.long 0xBF800000
.long 0xBF820669
.long 0x7E9C02FF, 0x80000000
.long 0xD0C90044, 0x00003100
.long 0xD0C90048, 0x00003301
.long 0x86C84844
.long 0xD1FE0006, 0x020A0103
.long 0xD1000006, 0x01220D4E
.long 0xD1196A01, 0x00010301
.long 0xD1340002, 0x00004D02
.long 0xD1340003, 0x00004903
.long 0xD0C90044, 0x00003100
.long 0xD0C90048, 0x00003301
.long 0x86C84844
.long 0xD1FE0007, 0x020A0103
.long 0xD1000007, 0x01220F4E
.long 0xD1196A01, 0x00010301
.long 0xD1340002, 0x00004D02
.long 0xD1340003, 0x00004903
.long 0xD0C90044, 0x00003100
.long 0xD0C90048, 0x00003301
.long 0x86C84844
.long 0xD1FE0010, 0x020A0103
.long 0xD1000010, 0x0122214E
.long 0xD1196A01, 0x00010301
.long 0xD1340002, 0x00004D02
.long 0xD1340003, 0x00004903
.long 0xD0C90044, 0x00003100
.long 0xD0C90048, 0x00003301
.long 0x86C84844
.long 0xD1FE0011, 0x020A0103
.long 0xD1000011, 0x0122234E
.long 0xD1196A01, 0x00011B01
.long 0x92448D26
.long 0xD1340002, 0x00008902
.long 0x92448D24
.long 0xD1340003, 0x00008903
.long 0xD0C90044, 0x00003100
.long 0xD0C90048, 0x00003301
.long 0x86C84844
.long 0xD1FE0012, 0x020A0103
.long 0xD1000012, 0x0122254E
.long 0xD1196A01, 0x00010301
.long 0xD1340002, 0x00004D02
.long 0xD1340003, 0x00004903
.long 0xD0C90044, 0x00003100
.long 0xD0C90048, 0x00003301
.long 0x86C84844
.long 0xD1FE0013, 0x020A0103
.long 0xD1000013, 0x0122274E
.long 0xD1196A01, 0x00010301
.long 0xD1340002, 0x00004D02
.long 0xD1340003, 0x00004903
.long 0xD0C90044, 0x00003100
.long 0xD0C90048, 0x00003301
.long 0x86C84844
.long 0xD1FE0024, 0x020A0103
.long 0xD1000024, 0x0122494E
.long 0xD1196A01, 0x00010301
.long 0xD1340002, 0x00004D02
.long 0xD1340003, 0x00004903
.long 0xD0C90044, 0x00003100
.long 0xD0C90048, 0x00003301
.long 0x86C84844
.long 0xD1FE0025, 0x020A0103
.long 0xD1000025, 0x01224B4E
.long 0xD1196A01, 0x00011B01
.long 0x92448D26
.long 0xD1340002, 0x00008902
	;; [unrolled: 34-line block ×3, first 2 shown]
.long 0x92448D24
.long 0xD1340003, 0x00008903
.long 0xD0C90044, 0x00003100
.long 0xD0C90048, 0x00003301
.long 0x86C84844
.long 0xD1FE003A, 0x020A0103
.long 0xD100003A, 0x0122754E
.long 0xD1196A01, 0x00010301
.long 0xD1340002, 0x00004D02
.long 0xD1340003, 0x00004903
.long 0xD0C90044, 0x00003100
.long 0xD0C90048, 0x00003301
.long 0x86C84844
.long 0xD1FE003B, 0x020A0103
.long 0xD100003B, 0x0122774E
.long 0xD1196A01, 0x00010301
.long 0xD1340002, 0x00004D02
	;; [unrolled: 8-line block ×4, first 2 shown]
.long 0xD3D8400A, 0x18000108
.long 0xD3D8400B, 0x1800010C
	;; [unrolled: 1-line block ×62, first 2 shown]
.long 0xBF800001
.long 0xE07C1000, 0x80040806
.long 0xE07C1000, 0x80040C07
	;; [unrolled: 1-line block ×16, first 2 shown]
.long 0xBF800000
.long 0x7E9C02FF, 0x80000000
.long 0xD1196A01, 0x00011B01
.long 0x92448D26
.long 0xD1340002, 0x00008902
.long 0x92448D24
.long 0xD1340003, 0x00008903
.long 0xD0C90044, 0x00003100
.long 0xD0C90048, 0x00003301
.long 0x86C84844
.long 0xD1FE0006, 0x020A0103
.long 0xD1000006, 0x01220D4E
.long 0xD1196A01, 0x00010301
.long 0xD1340002, 0x00004D02
.long 0xD1340003, 0x00004903
.long 0xD0C90044, 0x00003100
.long 0xD0C90048, 0x00003301
.long 0x86C84844
.long 0xD1FE0007, 0x020A0103
.long 0xD1000007, 0x01220F4E
.long 0xD1196A01, 0x00010301
.long 0xD1340002, 0x00004D02
.long 0xD1340003, 0x00004903
.long 0xD0C90044, 0x00003100
.long 0xD0C90048, 0x00003301
.long 0x86C84844
.long 0xD1FE0010, 0x020A0103
.long 0xD1000010, 0x0122214E
.long 0xD1196A01, 0x00010301
.long 0xD1340002, 0x00004D02
.long 0xD1340003, 0x00004903
.long 0xD0C90044, 0x00003100
.long 0xD0C90048, 0x00003301
.long 0x86C84844
.long 0xD1FE0011, 0x020A0103
.long 0xD1000011, 0x0122234E
.long 0xD1196A01, 0x00011B01
.long 0x92448D26
.long 0xD1340002, 0x00008902
.long 0x92448D24
.long 0xD1340003, 0x00008903
.long 0xD0C90044, 0x00003100
.long 0xD0C90048, 0x00003301
.long 0x86C84844
.long 0xD1FE0012, 0x020A0103
.long 0xD1000012, 0x0122254E
.long 0xD1196A01, 0x00010301
.long 0xD1340002, 0x00004D02
.long 0xD1340003, 0x00004903
.long 0xD0C90044, 0x00003100
.long 0xD0C90048, 0x00003301
.long 0x86C84844
.long 0xD1FE0013, 0x020A0103
.long 0xD1000013, 0x0122274E
.long 0xD1196A01, 0x00010301
.long 0xD1340002, 0x00004D02
.long 0xD1340003, 0x00004903
.long 0xD0C90044, 0x00003100
.long 0xD0C90048, 0x00003301
.long 0x86C84844
.long 0xD1FE0024, 0x020A0103
.long 0xD1000024, 0x0122494E
.long 0xD1196A01, 0x00010301
.long 0xD1340002, 0x00004D02
.long 0xD1340003, 0x00004903
.long 0xD0C90044, 0x00003100
.long 0xD0C90048, 0x00003301
.long 0x86C84844
.long 0xD1FE0025, 0x020A0103
	;; [unrolled: 34-line block ×4, first 2 shown]
.long 0xD100004D, 0x01229B4E
.long 0xD3D84008, 0x18000140
	;; [unrolled: 1-line block ×65, first 2 shown]
.long 0xBF800001
.long 0xE07C1000, 0x80040806
.long 0xE07C1000, 0x80040C07
	;; [unrolled: 1-line block ×16, first 2 shown]
.long 0xBF800000
.long 0x7E9C02FF, 0x80000000
.long 0xD1196A01, 0x00011B01
.long 0x92448D26
.long 0xD1340002, 0x00008902
.long 0x92448D24
.long 0xD1340003, 0x00008903
.long 0xD0C90044, 0x00003100
.long 0xD0C90048, 0x00003301
.long 0x86C84844
.long 0xD1FE0006, 0x020A0103
.long 0xD1000006, 0x01220D4E
.long 0xD1196A01, 0x00010301
.long 0xD1340002, 0x00004D02
.long 0xD1340003, 0x00004903
.long 0xD0C90044, 0x00003100
.long 0xD0C90048, 0x00003301
.long 0x86C84844
.long 0xD1FE0007, 0x020A0103
.long 0xD1000007, 0x01220F4E
.long 0xD1196A01, 0x00010301
.long 0xD1340002, 0x00004D02
.long 0xD1340003, 0x00004903
.long 0xD0C90044, 0x00003100
.long 0xD0C90048, 0x00003301
.long 0x86C84844
.long 0xD1FE0010, 0x020A0103
.long 0xD1000010, 0x0122214E
.long 0xD1196A01, 0x00010301
.long 0xD1340002, 0x00004D02
.long 0xD1340003, 0x00004903
.long 0xD0C90044, 0x00003100
.long 0xD0C90048, 0x00003301
.long 0x86C84844
.long 0xD1FE0011, 0x020A0103
.long 0xD1000011, 0x0122234E
.long 0xD1196A01, 0x00011B01
.long 0x92448D26
.long 0xD1340002, 0x00008902
.long 0x92448D24
.long 0xD1340003, 0x00008903
.long 0xD0C90044, 0x00003100
.long 0xD0C90048, 0x00003301
.long 0x86C84844
.long 0xD1FE0012, 0x020A0103
.long 0xD1000012, 0x0122254E
.long 0xD1196A01, 0x00010301
.long 0xD1340002, 0x00004D02
.long 0xD1340003, 0x00004903
.long 0xD0C90044, 0x00003100
.long 0xD0C90048, 0x00003301
.long 0x86C84844
.long 0xD1FE0013, 0x020A0103
.long 0xD1000013, 0x0122274E
.long 0xD1196A01, 0x00010301
.long 0xD1340002, 0x00004D02
.long 0xD1340003, 0x00004903
.long 0xD0C90044, 0x00003100
.long 0xD0C90048, 0x00003301
.long 0x86C84844
.long 0xD1FE0024, 0x020A0103
.long 0xD1000024, 0x0122494E
.long 0xD1196A01, 0x00010301
.long 0xD1340002, 0x00004D02
.long 0xD1340003, 0x00004903
.long 0xD0C90044, 0x00003100
.long 0xD0C90048, 0x00003301
.long 0x86C84844
.long 0xD1FE0025, 0x020A0103
	;; [unrolled: 34-line block ×4, first 2 shown]
.long 0xD100004D, 0x01229B4E
.long 0xD3D84008, 0x18000180
	;; [unrolled: 1-line block ×65, first 2 shown]
.long 0xBF800001
.long 0xE07C1000, 0x80040806
.long 0xE07C1000, 0x80040C07
	;; [unrolled: 1-line block ×16, first 2 shown]
.long 0xBF800000
.long 0x7E9C02FF, 0x80000000
.long 0xD1196A01, 0x00011B01
.long 0x92448D26
.long 0xD1340002, 0x00008902
.long 0x92448D24
.long 0xD1340003, 0x00008903
.long 0xD0C90044, 0x00003100
.long 0xD0C90048, 0x00003301
.long 0x86C84844
.long 0xD1FE0006, 0x020A0103
.long 0xD1000006, 0x01220D4E
.long 0xD1196A01, 0x00010301
.long 0xD1340002, 0x00004D02
.long 0xD1340003, 0x00004903
.long 0xD0C90044, 0x00003100
.long 0xD0C90048, 0x00003301
.long 0x86C84844
.long 0xD1FE0007, 0x020A0103
.long 0xD1000007, 0x01220F4E
.long 0xD1196A01, 0x00010301
.long 0xD1340002, 0x00004D02
.long 0xD1340003, 0x00004903
.long 0xD0C90044, 0x00003100
.long 0xD0C90048, 0x00003301
.long 0x86C84844
.long 0xD1FE0010, 0x020A0103
.long 0xD1000010, 0x0122214E
.long 0xD1196A01, 0x00010301
.long 0xD1340002, 0x00004D02
.long 0xD1340003, 0x00004903
.long 0xD0C90044, 0x00003100
.long 0xD0C90048, 0x00003301
.long 0x86C84844
.long 0xD1FE0011, 0x020A0103
.long 0xD1000011, 0x0122234E
.long 0xD1196A01, 0x00011B01
.long 0x92448D26
.long 0xD1340002, 0x00008902
.long 0x92448D24
.long 0xD1340003, 0x00008903
.long 0xD0C90044, 0x00003100
.long 0xD0C90048, 0x00003301
.long 0x86C84844
.long 0xD1FE0012, 0x020A0103
.long 0xD1000012, 0x0122254E
.long 0xD1196A01, 0x00010301
.long 0xD1340002, 0x00004D02
.long 0xD1340003, 0x00004903
.long 0xD0C90044, 0x00003100
.long 0xD0C90048, 0x00003301
.long 0x86C84844
.long 0xD1FE0013, 0x020A0103
.long 0xD1000013, 0x0122274E
.long 0xD1196A01, 0x00010301
.long 0xD1340002, 0x00004D02
.long 0xD1340003, 0x00004903
.long 0xD0C90044, 0x00003100
.long 0xD0C90048, 0x00003301
.long 0x86C84844
.long 0xD1FE0024, 0x020A0103
.long 0xD1000024, 0x0122494E
.long 0xD1196A01, 0x00010301
.long 0xD1340002, 0x00004D02
.long 0xD1340003, 0x00004903
.long 0xD0C90044, 0x00003100
.long 0xD0C90048, 0x00003301
.long 0x86C84844
.long 0xD1FE0025, 0x020A0103
	;; [unrolled: 34-line block ×4, first 2 shown]
.long 0xD100004D, 0x01229B4E
.long 0xD3D84008, 0x180001C0
	;; [unrolled: 1-line block ×65, first 2 shown]
.long 0xBF800001
.long 0xE07C1000, 0x80040806
.long 0xE07C1000, 0x80040C07
	;; [unrolled: 1-line block ×16, first 2 shown]
.long 0xBF800000
.long 0xBF820000
	;; [unrolled: 1-line block ×3, first 2 shown]
.long 0x814684FF, 0x0001124C
.long 0x80444644
.long 0x82458045
	;; [unrolled: 1-line block ×5, first 2 shown]
.long 0xBEBF00FF, 0x00020000
.long 0xBF128030
.long 0xBF840002
	;; [unrolled: 1-line block ×12, first 2 shown]
.long 0xBEC300FF, 0x00020000
.long 0xBF128032
.long 0xBF840002
.long 0xBEC20080
.long 0xBF820001
.long 0xBEC20005
.long 0xB4B40000
.long 0xBF85000F
.long 0x92424284
.long 0x920502FF, 0x00000100
.long 0x6811FC05
.long 0x92050435
	;; [unrolled: 1-line block ×4, first 2 shown]
.long 0xE0501000, 0x80100408
.long 0x2411FC82
.long 0xBF8C0F70
.long 0xBF8A0000
.long 0xD81A0000, 0x00000408
.long 0xBF820012
.long 0xB4B40004
.long 0xBF850010
.long 0x92424282
.long 0x920502FF, 0x00000100
.long 0x6811FC05
	;; [unrolled: 5-line block ×4, first 2 shown]
.long 0xB4380001
.long 0xBF850014
	;; [unrolled: 1-line block ×17, first 2 shown]
.long 0x810584FF, 0x00011110
.long 0x803A053A
.long 0x823B803B
.long 0xBF820030
.long 0xBEBA1C00
.long 0x810584FF, 0x000110FC
.long 0x803A053A
.long 0x823B803B
.long 0xBF82002A
.long 0xBEBA1C00
	;; [unrolled: 5-line block ×9, first 2 shown]
.long 0xBF841E80
.long 0x864618FF, 0x000000FF
.long 0x80470DC1
.long 0xBF094702
	;; [unrolled: 1-line block ×5, first 2 shown]
.long 0x864619FF, 0x000000FF
.long 0x80470EC1
.long 0xBF094703
	;; [unrolled: 1-line block ×5, first 2 shown]
.long 0x924602FF, 0x00000100
.long 0xD135000B, 0x00008D00
.long 0x24161682
.long 0xBF8CC07F
	;; [unrolled: 1-line block ×3, first 2 shown]
.long 0xD9FE0000, 0x1000000B
.long 0x24180082
.long 0xE05C1000, 0x800F140C
.long 0xD1FE0009, 0x02060103
	;; [unrolled: 1-line block ×66, first 2 shown]
.long 0xBF800001
.long 0x0A30302C
	;; [unrolled: 1-line block ×66, first 2 shown]
.long 0xD0CC0030, 0x0001003E
.long 0xD1000014, 0x00C228F2
	;; [unrolled: 1-line block ×10, first 2 shown]
.long 0xBEC41E3A
.long 0x7E300304
	;; [unrolled: 1-line block ×7, first 2 shown]
.long 0xD2A00018, 0x00023318
.long 0x7E34151A
.long 0x7E36151B
.long 0xD2A00019, 0x0002371A
.long 0xE0741000, 0x80041809
	;; [unrolled: 1-line block ×12, first 2 shown]
.long 0xBEC41E3A
.long 0x7E380304
.long 0x7E3A0305
.long 0x7E3C0306
.long 0x7E3E0307
.long 0x7E38151C
.long 0x7E3A151D
.long 0xD2A0001C, 0x00023B1C
.long 0x7E3C151E
.long 0x7E3E151F
.long 0xD2A0001D, 0x00023F1E
.long 0x8E468124
.long 0x80104610
.long 0x82118011
.long 0xE0741000, 0x80041C09
.long 0xD0CC0030, 0x0001003E
.long 0xD1000014, 0x00C228F2
.long 0xD1000015, 0x00C22AF2
.long 0xD3B14020, 0x18024114
.long 0xD0CC0030, 0x0001003E
.long 0xD1000016, 0x00C22CF2
.long 0xD1000017, 0x00C22EF2
.long 0xD3B14022, 0x18024516
.long 0xD3B24004, 0x18024110
.long 0xD3B24006, 0x18024512
.long 0xBEC41E3A
.long 0x7E400304
.long 0x7E420305
.long 0x7E440306
.long 0x7E460307
.long 0x7E401520
.long 0x7E421521
.long 0xD2A00020, 0x00024320
.long 0x7E441522
.long 0x7E461523
.long 0xD2A00021, 0x00024722
.long 0x8E468124
.long 0x80104610
.long 0x82118011
.long 0xE0741000, 0x80042009
.long 0xD0CC0030, 0x0001003E
.long 0xD1000014, 0x00C228F2
.long 0xD1000015, 0x00C22AF2
.long 0xD3B14024, 0x18024914
.long 0xD0CC0030, 0x0001003E
.long 0xD1000016, 0x00C22CF2
.long 0xD1000017, 0x00C22EF2
.long 0xD3B14026, 0x18024D16
.long 0xD3B24004, 0x18024910
.long 0xD3B24006, 0x18024D12
	;; [unrolled: 25-line block ×14, first 2 shown]
.long 0xBEC41E3A
.long 0x7EA80304
	;; [unrolled: 1-line block ×7, first 2 shown]
.long 0xD2A00054, 0x0002AB54
.long 0x7EAC1556
.long 0x7EAE1557
.long 0xD2A00055, 0x0002AF56
.long 0x8E468124
.long 0x80104610
	;; [unrolled: 1-line block ×3, first 2 shown]
.long 0xE0741000, 0x80045409
.long 0xBF800000
.long 0x924602FF, 0x00000100
.long 0xD135000B, 0x00008D00
.long 0x24161682
.long 0xD9FE0000, 0x1000000B
.long 0xE05C1000, 0x800F140C
	;; [unrolled: 1-line block ×66, first 2 shown]
.long 0xBF800001
.long 0x0A30302C
	;; [unrolled: 1-line block ×66, first 2 shown]
.long 0xD0CC0030, 0x0001003E
.long 0xD1000014, 0x00C228F2
.long 0xD1000015, 0x00C22AF2
.long 0xD3B14018, 0x18023114
.long 0xD0CC0030, 0x0001003E
.long 0xD1000016, 0x00C22CF2
.long 0xD1000017, 0x00C22EF2
.long 0xD3B1401A, 0x18023516
.long 0xD3B24004, 0x18023110
.long 0xD3B24006, 0x18023512
.long 0xBEC41E3A
.long 0x7E300304
.long 0x7E320305
.long 0x7E340306
.long 0x7E360307
.long 0x7E301518
.long 0x7E321519
.long 0xD2A00018, 0x00023318
.long 0x7E34151A
.long 0x7E36151B
.long 0xD2A00019, 0x0002371A
.long 0x92469A24
.long 0x80104610
.long 0x82118011
.long 0xE0741000, 0x80041809
.long 0xD0CC0030, 0x0001003E
.long 0xD1000014, 0x00C228F2
.long 0xD1000015, 0x00C22AF2
.long 0xD3B1401C, 0x18023914
.long 0xD0CC0030, 0x0001003E
.long 0xD1000016, 0x00C22CF2
.long 0xD1000017, 0x00C22EF2
.long 0xD3B1401E, 0x18023D16
.long 0xD3B24004, 0x18023910
.long 0xD3B24006, 0x18023D12
.long 0xBEC41E3A
.long 0x7E380304
.long 0x7E3A0305
.long 0x7E3C0306
.long 0x7E3E0307
.long 0x7E38151C
.long 0x7E3A151D
.long 0xD2A0001C, 0x00023B1C
.long 0x7E3C151E
.long 0x7E3E151F
.long 0xD2A0001D, 0x00023F1E
.long 0x8E468124
.long 0x80104610
.long 0x82118011
.long 0xE0741000, 0x80041C09
	;; [unrolled: 25-line block ×16, first 2 shown]
.long 0xBF800000
.long 0x924602FF, 0x00000100
.long 0xD135000B, 0x00008D00
.long 0x24161682
.long 0xD9FE0000, 0x1000000B
.long 0xE05C1000, 0x800F140C
	;; [unrolled: 1-line block ×66, first 2 shown]
.long 0xBF800001
.long 0x0A30302C
.long 0x0A32322C
.long 0x0A34342C
.long 0x0A36362C
.long 0x0A38382C
.long 0x0A3A3A2C
.long 0x0A3C3C2C
.long 0x0A3E3E2C
.long 0x0A40402C
.long 0x0A42422C
.long 0x0A44442C
.long 0x0A46462C
.long 0x0A48482C
.long 0x0A4A4A2C
.long 0x0A4C4C2C
.long 0x0A4E4E2C
.long 0x0A50502C
.long 0x0A52522C
.long 0x0A54542C
.long 0x0A56562C
.long 0x0A58582C
.long 0x0A5A5A2C
.long 0x0A5C5C2C
.long 0x0A5E5E2C
.long 0x0A60602C
.long 0x0A62622C
.long 0x0A64642C
.long 0x0A66662C
.long 0x0A68682C
.long 0x0A6A6A2C
.long 0x0A6C6C2C
.long 0x0A6E6E2C
.long 0x0A70702C
.long 0x0A72722C
.long 0x0A74742C
.long 0x0A76762C
.long 0x0A78782C
.long 0x0A7A7A2C
.long 0x0A7C7C2C
.long 0x0A7E7E2C
.long 0x0A80802C
.long 0x0A82822C
.long 0x0A84842C
.long 0x0A86862C
.long 0x0A88882C
.long 0x0A8A8A2C
.long 0x0A8C8C2C
.long 0x0A8E8E2C
.long 0x0A90902C
.long 0x0A92922C
.long 0x0A94942C
.long 0x0A96962C
.long 0x0A98982C
.long 0x0A9A9A2C
.long 0x0A9C9C2C
.long 0x0A9E9E2C
.long 0x0AA0A02C
.long 0x0AA2A22C
.long 0x0AA4A42C
.long 0x0AA6A62C
.long 0x0AA8A82C
.long 0x0AAAAA2C
.long 0x0AACAC2C
.long 0x0AAEAE2C
.long 0xBF8C0000
.long 0xD0CC0030, 0x0001003E
.long 0xD1000014, 0x00C228F2
.long 0xD1000015, 0x00C22AF2
.long 0xD3B14018, 0x18023114
.long 0xD0CC0030, 0x0001003E
.long 0xD1000016, 0x00C22CF2
.long 0xD1000017, 0x00C22EF2
.long 0xD3B1401A, 0x18023516
.long 0xD3B24004, 0x18023110
.long 0xD3B24006, 0x18023512
.long 0xBEC41E3A
.long 0x7E300304
.long 0x7E320305
.long 0x7E340306
.long 0x7E360307
.long 0x7E301518
.long 0x7E321519
.long 0xD2A00018, 0x00023318
.long 0x7E34151A
.long 0x7E36151B
.long 0xD2A00019, 0x0002371A
.long 0x92469A24
.long 0x80104610
.long 0x82118011
.long 0xE0741000, 0x80041809
.long 0xD0CC0030, 0x0001003E
.long 0xD1000014, 0x00C228F2
.long 0xD1000015, 0x00C22AF2
.long 0xD3B1401C, 0x18023914
.long 0xD0CC0030, 0x0001003E
.long 0xD1000016, 0x00C22CF2
.long 0xD1000017, 0x00C22EF2
.long 0xD3B1401E, 0x18023D16
.long 0xD3B24004, 0x18023910
.long 0xD3B24006, 0x18023D12
.long 0xBEC41E3A
.long 0x7E380304
.long 0x7E3A0305
.long 0x7E3C0306
.long 0x7E3E0307
.long 0x7E38151C
.long 0x7E3A151D
.long 0xD2A0001C, 0x00023B1C
.long 0x7E3C151E
.long 0x7E3E151F
.long 0xD2A0001D, 0x00023F1E
.long 0x8E468124
.long 0x80104610
.long 0x82118011
.long 0xE0741000, 0x80041C09
	;; [unrolled: 25-line block ×16, first 2 shown]
.long 0xBF800000
.long 0x924602FF, 0x00000100
.long 0xD135000B, 0x00008D00
.long 0x24161682
.long 0xD9FE0000, 0x1000000B
.long 0xE05C1000, 0x800F140C
	;; [unrolled: 1-line block ×66, first 2 shown]
.long 0xBF800001
.long 0x0A30302C
	;; [unrolled: 1-line block ×66, first 2 shown]
.long 0xD0CC0030, 0x0001003E
.long 0xD1000014, 0x00C228F2
.long 0xD1000015, 0x00C22AF2
.long 0xD3B14018, 0x18023114
.long 0xD0CC0030, 0x0001003E
.long 0xD1000016, 0x00C22CF2
.long 0xD1000017, 0x00C22EF2
.long 0xD3B1401A, 0x18023516
.long 0xD3B24004, 0x18023110
.long 0xD3B24006, 0x18023512
.long 0xBEC41E3A
.long 0x7E300304
.long 0x7E320305
.long 0x7E340306
.long 0x7E360307
.long 0x7E301518
.long 0x7E321519
.long 0xD2A00018, 0x00023318
.long 0x7E34151A
.long 0x7E36151B
.long 0xD2A00019, 0x0002371A
.long 0x92469A24
.long 0x80104610
.long 0x82118011
.long 0xE0741000, 0x80041809
.long 0xD0CC0030, 0x0001003E
.long 0xD1000014, 0x00C228F2
.long 0xD1000015, 0x00C22AF2
.long 0xD3B1401C, 0x18023914
.long 0xD0CC0030, 0x0001003E
.long 0xD1000016, 0x00C22CF2
.long 0xD1000017, 0x00C22EF2
.long 0xD3B1401E, 0x18023D16
.long 0xD3B24004, 0x18023910
.long 0xD3B24006, 0x18023D12
.long 0xBEC41E3A
.long 0x7E380304
.long 0x7E3A0305
.long 0x7E3C0306
.long 0x7E3E0307
.long 0x7E38151C
.long 0x7E3A151D
.long 0xD2A0001C, 0x00023B1C
.long 0x7E3C151E
.long 0x7E3E151F
.long 0xD2A0001D, 0x00023F1E
.long 0x8E468124
.long 0x80104610
.long 0x82118011
.long 0xE0741000, 0x80041C09
	;; [unrolled: 25-line block ×16, first 2 shown]
.long 0xBF800000
.long 0xBF82374C
.long 0x7EFA02FF, 0x80000000
.long 0xD0C90046, 0x00003100
	;; [unrolled: 1-line block ×3, first 2 shown]
.long 0x86CA4A46
.long 0x924602FF, 0x00000100
.long 0xD135000A, 0x00008D00
.long 0x24141482
.long 0xD100000A, 0x012A157D
.long 0xBF8CC07F
.long 0xBF8A0000
.long 0xD9FE0000, 0x0C00000A
.long 0x24160082
.long 0xE05C1000, 0x800F100B
.long 0xD1FE0009, 0x02060103
	;; [unrolled: 1-line block ×8, first 2 shown]
.long 0x86CA4A46
.long 0x924602FF, 0x00000100
.long 0xD1350019, 0x00008D00
.long 0x24323282
.long 0xD1000019, 0x012A337D
.long 0x24340082
.long 0xD1FE0018, 0x02060103
.long 0xD1000018, 0x012A317D
.long 0xD1196A01, 0x00010301
.long 0xD1340002, 0x00004D02
.long 0xD1340003, 0x00004903
.long 0xD0C90046, 0x00003100
.long 0xD0C9004A, 0x00003301
.long 0x86CA4A46
.long 0x924602FF, 0x00000100
.long 0xD1350020, 0x00008D00
.long 0x24404082
.long 0xD1000020, 0x012A417D
.long 0x24420082
.long 0xD1FE001B, 0x02060103
.long 0xD100001B, 0x012A377D
.long 0xD1196A01, 0x00010301
.long 0xD1340002, 0x00004D02
.long 0xD1340003, 0x00004903
.long 0xD0C90046, 0x00003100
.long 0xD0C9004A, 0x00003301
.long 0x86CA4A46
.long 0x924602FF, 0x00000100
.long 0xD1350023, 0x00008D00
.long 0x24464682
.long 0xD1000023, 0x012A477D
.long 0x24500082
.long 0xD1FE0022, 0x02060103
.long 0xD1000022, 0x012A457D
.long 0xD1196A01, 0x00011B01
.long 0x92468D26
.long 0xD1340002, 0x00008D02
.long 0x92468D24
.long 0xD1340003, 0x00008D03
.long 0xD0C90046, 0x00003100
.long 0xD0C9004A, 0x00003301
.long 0x86CA4A46
.long 0x924602FF, 0x00000100
.long 0xD135002A, 0x00008D00
.long 0x24545482
.long 0xD100002A, 0x012A557D
.long 0x24560082
.long 0xD1FE0029, 0x02060103
.long 0xD1000029, 0x012A537D
.long 0xD1196A01, 0x00010301
.long 0xD1340002, 0x00004D02
.long 0xD1340003, 0x00004903
.long 0xD0C90046, 0x00003100
.long 0xD0C9004A, 0x00003301
.long 0x86CA4A46
.long 0x924602FF, 0x00000100
.long 0xD1350035, 0x00008D00
.long 0x246A6A82
.long 0xD1000035, 0x012A6B7D
.long 0x246C0082
.long 0xD1FE0034, 0x02060103
.long 0xD1000034, 0x012A697D
.long 0xD1196A01, 0x00010301
.long 0xD1340002, 0x00004D02
.long 0xD1340003, 0x00004903
.long 0xD0C90046, 0x00003100
.long 0xD0C9004A, 0x00003301
.long 0x86CA4A46
.long 0x924602FF, 0x00000100
.long 0xD135003C, 0x00008D00
.long 0x24787882
.long 0xD100003C, 0x012A797D
.long 0x247A0082
.long 0xD1FE0037, 0x02060103
.long 0xD1000037, 0x012A6F7D
.long 0xD1196A01, 0x00010301
.long 0xD1340002, 0x00004D02
.long 0xD1340003, 0x00004903
.long 0xD0C90046, 0x00003100
.long 0xD0C9004A, 0x00003301
.long 0x86CA4A46
.long 0x924602FF, 0x00000100
.long 0xD135003F, 0x00008D00
.long 0x247E7E82
.long 0xD100003F, 0x012A7F7D
.long 0x24880082
.long 0xD1FE003E, 0x02060103
.long 0xD100003E, 0x012A7D7D
.long 0xD1196A01, 0x00011B01
.long 0x92468D26
.long 0xD1340002, 0x00008D02
.long 0x92468D24
.long 0xD1340003, 0x00008D03
.long 0xD0C90046, 0x00003100
.long 0xD0C9004A, 0x00003301
.long 0x86CA4A46
.long 0x924602FF, 0x00000100
.long 0xD1350046, 0x00008D00
.long 0x248C8C82
.long 0xD1000046, 0x012A8D7D
.long 0x248E0082
.long 0xD1FE0045, 0x02060103
.long 0xD1000045, 0x012A8B7D
.long 0xD1196A01, 0x00010301
.long 0xD1340002, 0x00004D02
.long 0xD1340003, 0x00004903
.long 0xD0C90046, 0x00003100
.long 0xD0C9004A, 0x00003301
	;; [unrolled: 54-line block ×3, first 2 shown]
.long 0x86CA4A46
.long 0x924602FF, 0x00000100
.long 0xD135006D, 0x00008D00
.long 0x24DADA82
.long 0xD100006D, 0x012ADB7D
.long 0x24DC0082
.long 0xD1FE006C, 0x02060103
.long 0xD100006C, 0x012AD97D
.long 0xD1196A01, 0x00010301
.long 0xD1340002, 0x00004D02
.long 0xD1340003, 0x00004903
.long 0xD0C90046, 0x00003100
.long 0xD0C9004A, 0x00003301
.long 0x86CA4A46
.long 0x924602FF, 0x00000100
.long 0xD1350074, 0x00008D00
.long 0x24E8E882
.long 0xD1000074, 0x012AE97D
.long 0x24EA0082
.long 0xD1FE006F, 0x02060103
.long 0xD100006F, 0x012ADF7D
.long 0xD1196A01, 0x00010301
.long 0xD1340002, 0x00004D02
.long 0xD1340003, 0x00004903
.long 0xD0C90046, 0x00003100
.long 0xD0C9004A, 0x00003301
	;; [unrolled: 13-line block ×3, first 2 shown]
.long 0xD3D8401D, 0x18000105
.long 0xD3D8401E, 0x18000109
.long 0xD3D8401F, 0x1800010D
.long 0xD3D84024, 0x18000102
.long 0xD3D84025, 0x18000106
.long 0xD3D84026, 0x1800010A
.long 0xD3D84027, 0x1800010E
.long 0xD3D8402C, 0x18000103
.long 0xD3D8402D, 0x18000107
.long 0xD3D8402E, 0x1800010B
.long 0xD3D8402F, 0x1800010F
.long 0xD3D84030, 0x18000110
.long 0xD3D84031, 0x18000114
.long 0xD3D84032, 0x18000118
.long 0xD3D84033, 0x1800011C
.long 0xD3D84038, 0x18000111
.long 0xD3D84039, 0x18000115
.long 0xD3D8403A, 0x18000119
.long 0xD3D8403B, 0x1800011D
.long 0xD3D84040, 0x18000112
.long 0xD3D84041, 0x18000116
.long 0xD3D84042, 0x1800011A
.long 0xD3D84043, 0x1800011E
.long 0xD3D84048, 0x18000113
.long 0xD3D84049, 0x18000117
.long 0xD3D8404A, 0x1800011B
.long 0xD3D8404B, 0x1800011F
.long 0xD3D8404C, 0x18000120
.long 0xD3D8404D, 0x18000124
.long 0xD3D8404E, 0x18000128
.long 0xD3D8404F, 0x1800012C
.long 0xD3D84054, 0x18000121
.long 0xD3D84055, 0x18000125
.long 0xD3D84056, 0x18000129
.long 0xD3D84057, 0x1800012D
.long 0xD3D8405C, 0x18000122
.long 0xD3D8405D, 0x18000126
.long 0xD3D8405E, 0x1800012A
.long 0xD3D8405F, 0x1800012E
.long 0xD3D84064, 0x18000123
.long 0xD3D84065, 0x18000127
.long 0xD3D84066, 0x1800012B
.long 0xD3D84067, 0x1800012F
.long 0xD3D84068, 0x18000130
.long 0xD3D84069, 0x18000134
.long 0xD3D8406A, 0x18000138
.long 0xD3D8406B, 0x1800013C
.long 0xD3D84070, 0x18000131
.long 0xD3D84071, 0x18000135
.long 0xD3D84072, 0x18000139
.long 0xD3D84073, 0x1800013D
.long 0xD3D84078, 0x18000132
.long 0xD3D84079, 0x18000136
.long 0xD3D8407A, 0x1800013A
.long 0xD3D8407B, 0x1800013E
.long 0xD3D84080, 0x18000133
.long 0xD3D84081, 0x18000137
.long 0xD3D84082, 0x1800013B
.long 0xD3D84083, 0x1800013F
.long 0xBF800001
.long 0x0A28282C
	;; [unrolled: 1-line block ×66, first 2 shown]
.long 0xD0CC0030, 0x0001003E
.long 0xD1000010, 0x00C220F2
.long 0xD1000011, 0x00C222F2
.long 0xD3B14014, 0x18022910
.long 0xD0CC0030, 0x0001003E
.long 0xD1000012, 0x00C224F2
.long 0xD1000013, 0x00C226F2
.long 0xD3B14016, 0x18022D12
.long 0xD3B24004, 0x1802290C
.long 0xD3B24006, 0x18022D0E
.long 0xBEC41E3A
.long 0x7E280304
.long 0x7E2A0305
.long 0x7E2C0306
.long 0x7E2E0307
.long 0x7E281514
.long 0x7E2A1515
.long 0xD2A00014, 0x00022B14
.long 0x7E2C1516
.long 0x7E2E1517
.long 0xD2A00015, 0x00022F16
.long 0xE0741000, 0x80041409
.long 0xD0CC0030, 0x0001003E
.long 0xD1000010, 0x00C220F2
.long 0xD1000011, 0x00C222F2
.long 0xD3B1401C, 0x18023910
.long 0xD0CC0030, 0x0001003E
.long 0xD1000012, 0x00C224F2
.long 0xD1000013, 0x00C226F2
.long 0xD3B1401E, 0x18023D12
.long 0xD3B24004, 0x1802390C
.long 0xD3B24006, 0x18023D0E
.long 0xBEC41E3A
.long 0x7E380304
.long 0x7E3A0305
.long 0x7E3C0306
.long 0x7E3E0307
.long 0x7E38151C
.long 0x7E3A151D
.long 0xD2A0001C, 0x00023B1C
.long 0x7E3C151E
.long 0x7E3E151F
.long 0xD2A0001D, 0x00023F1E
.long 0xE0741000, 0x80041C18
	;; [unrolled: 22-line block ×16, first 2 shown]
.long 0xBF800000
.long 0x7EFA02FF, 0x80000000
.long 0xD1196A01, 0x00011B01
.long 0x92468D26
.long 0xD1340002, 0x00008D02
.long 0x92468D24
.long 0xD1340003, 0x00008D03
.long 0xD0C90046, 0x00003100
	;; [unrolled: 1-line block ×3, first 2 shown]
.long 0x86CA4A46
.long 0x924602FF, 0x00000100
.long 0xD135000A, 0x00008D00
.long 0x24141482
.long 0xD100000A, 0x012A157D
.long 0xD9FE0000, 0x0C00000A
	;; [unrolled: 3-line block ×3, first 2 shown]
.long 0xD1000009, 0x012A137D
.long 0xD1196A01, 0x00010301
.long 0xD1340002, 0x00004D02
.long 0xD1340003, 0x00004903
.long 0xD0C90046, 0x00003100
.long 0xD0C9004A, 0x00003301
.long 0x86CA4A46
.long 0x924602FF, 0x00000100
.long 0xD1350019, 0x00008D00
.long 0x24323282
.long 0xD1000019, 0x012A337D
.long 0x24340082
.long 0xD1FE0018, 0x02060103
.long 0xD1000018, 0x012A317D
.long 0xD1196A01, 0x00010301
.long 0xD1340002, 0x00004D02
.long 0xD1340003, 0x00004903
.long 0xD0C90046, 0x00003100
.long 0xD0C9004A, 0x00003301
.long 0x86CA4A46
.long 0x924602FF, 0x00000100
.long 0xD1350020, 0x00008D00
.long 0x24404082
.long 0xD1000020, 0x012A417D
.long 0x24420082
.long 0xD1FE001B, 0x02060103
.long 0xD100001B, 0x012A377D
.long 0xD1196A01, 0x00010301
.long 0xD1340002, 0x00004D02
.long 0xD1340003, 0x00004903
.long 0xD0C90046, 0x00003100
.long 0xD0C9004A, 0x00003301
.long 0x86CA4A46
.long 0x924602FF, 0x00000100
.long 0xD1350023, 0x00008D00
.long 0x24464682
.long 0xD1000023, 0x012A477D
.long 0x24500082
.long 0xD1FE0022, 0x02060103
.long 0xD1000022, 0x012A457D
.long 0xD1196A01, 0x00011B01
.long 0x92468D26
.long 0xD1340002, 0x00008D02
.long 0x92468D24
.long 0xD1340003, 0x00008D03
.long 0xD0C90046, 0x00003100
.long 0xD0C9004A, 0x00003301
.long 0x86CA4A46
.long 0x924602FF, 0x00000100
.long 0xD135002A, 0x00008D00
.long 0x24545482
.long 0xD100002A, 0x012A557D
.long 0x24560082
.long 0xD1FE0029, 0x02060103
.long 0xD1000029, 0x012A537D
.long 0xD1196A01, 0x00010301
.long 0xD1340002, 0x00004D02
.long 0xD1340003, 0x00004903
.long 0xD0C90046, 0x00003100
.long 0xD0C9004A, 0x00003301
.long 0x86CA4A46
.long 0x924602FF, 0x00000100
.long 0xD1350035, 0x00008D00
.long 0x246A6A82
.long 0xD1000035, 0x012A6B7D
.long 0x246C0082
.long 0xD1FE0034, 0x02060103
.long 0xD1000034, 0x012A697D
.long 0xD1196A01, 0x00010301
.long 0xD1340002, 0x00004D02
.long 0xD1340003, 0x00004903
.long 0xD0C90046, 0x00003100
.long 0xD0C9004A, 0x00003301
.long 0x86CA4A46
.long 0x924602FF, 0x00000100
.long 0xD135003C, 0x00008D00
.long 0x24787882
.long 0xD100003C, 0x012A797D
.long 0x247A0082
.long 0xD1FE0037, 0x02060103
.long 0xD1000037, 0x012A6F7D
.long 0xD1196A01, 0x00010301
.long 0xD1340002, 0x00004D02
.long 0xD1340003, 0x00004903
.long 0xD0C90046, 0x00003100
.long 0xD0C9004A, 0x00003301
.long 0x86CA4A46
.long 0x924602FF, 0x00000100
.long 0xD135003F, 0x00008D00
.long 0x247E7E82
.long 0xD100003F, 0x012A7F7D
.long 0x24880082
.long 0xD1FE003E, 0x02060103
.long 0xD100003E, 0x012A7D7D
.long 0xD1196A01, 0x00011B01
.long 0x92468D26
.long 0xD1340002, 0x00008D02
.long 0x92468D24
.long 0xD1340003, 0x00008D03
.long 0xD0C90046, 0x00003100
.long 0xD0C9004A, 0x00003301
.long 0x86CA4A46
.long 0x924602FF, 0x00000100
.long 0xD1350046, 0x00008D00
.long 0x248C8C82
.long 0xD1000046, 0x012A8D7D
.long 0x248E0082
.long 0xD1FE0045, 0x02060103
	;; [unrolled: 54-line block ×3, first 2 shown]
.long 0xD1000061, 0x012AC37D
.long 0xD1196A01, 0x00010301
.long 0xD1340002, 0x00004D02
.long 0xD1340003, 0x00004903
.long 0xD0C90046, 0x00003100
.long 0xD0C9004A, 0x00003301
.long 0x86CA4A46
.long 0x924602FF, 0x00000100
.long 0xD135006D, 0x00008D00
.long 0x24DADA82
.long 0xD100006D, 0x012ADB7D
.long 0x24DC0082
.long 0xD1FE006C, 0x02060103
.long 0xD100006C, 0x012AD97D
.long 0xD1196A01, 0x00010301
.long 0xD1340002, 0x00004D02
.long 0xD1340003, 0x00004903
.long 0xD0C90046, 0x00003100
.long 0xD0C9004A, 0x00003301
.long 0x86CA4A46
.long 0x924602FF, 0x00000100
.long 0xD1350074, 0x00008D00
.long 0x24E8E882
.long 0xD1000074, 0x012AE97D
.long 0x24EA0082
.long 0xD1FE006F, 0x02060103
	;; [unrolled: 13-line block ×3, first 2 shown]
.long 0xD1000076, 0x012AED7D
.long 0xD3D84014, 0x18000140
	;; [unrolled: 1-line block ×65, first 2 shown]
.long 0xBF800001
.long 0x0A28282C
	;; [unrolled: 1-line block ×66, first 2 shown]
.long 0xD0CC0030, 0x0001003E
.long 0xD1000010, 0x00C220F2
.long 0xD1000011, 0x00C222F2
.long 0xD3B14014, 0x18022910
.long 0xD0CC0030, 0x0001003E
.long 0xD1000012, 0x00C224F2
.long 0xD1000013, 0x00C226F2
.long 0xD3B14016, 0x18022D12
.long 0xD3B24004, 0x1802290C
.long 0xD3B24006, 0x18022D0E
.long 0xBEC41E3A
.long 0x7E280304
.long 0x7E2A0305
.long 0x7E2C0306
.long 0x7E2E0307
.long 0x7E281514
.long 0x7E2A1515
.long 0xD2A00014, 0x00022B14
.long 0x7E2C1516
.long 0x7E2E1517
.long 0xD2A00015, 0x00022F16
.long 0xE0741000, 0x80041409
.long 0xD0CC0030, 0x0001003E
.long 0xD1000010, 0x00C220F2
.long 0xD1000011, 0x00C222F2
.long 0xD3B1401C, 0x18023910
.long 0xD0CC0030, 0x0001003E
.long 0xD1000012, 0x00C224F2
.long 0xD1000013, 0x00C226F2
.long 0xD3B1401E, 0x18023D12
.long 0xD3B24004, 0x1802390C
.long 0xD3B24006, 0x18023D0E
.long 0xBEC41E3A
.long 0x7E380304
.long 0x7E3A0305
.long 0x7E3C0306
.long 0x7E3E0307
.long 0x7E38151C
.long 0x7E3A151D
.long 0xD2A0001C, 0x00023B1C
.long 0x7E3C151E
.long 0x7E3E151F
.long 0xD2A0001D, 0x00023F1E
.long 0xE0741000, 0x80041C18
	;; [unrolled: 22-line block ×16, first 2 shown]
.long 0xBF800000
.long 0x7EFA02FF, 0x80000000
.long 0xD1196A01, 0x00011B01
.long 0x92468D26
.long 0xD1340002, 0x00008D02
.long 0x92468D24
.long 0xD1340003, 0x00008D03
.long 0xD0C90046, 0x00003100
	;; [unrolled: 1-line block ×3, first 2 shown]
.long 0x86CA4A46
.long 0x924602FF, 0x00000100
.long 0xD135000A, 0x00008D00
.long 0x24141482
.long 0xD100000A, 0x012A157D
.long 0xD9FE0000, 0x0C00000A
	;; [unrolled: 3-line block ×3, first 2 shown]
.long 0xD1000009, 0x012A137D
.long 0xD1196A01, 0x00010301
.long 0xD1340002, 0x00004D02
.long 0xD1340003, 0x00004903
.long 0xD0C90046, 0x00003100
.long 0xD0C9004A, 0x00003301
.long 0x86CA4A46
.long 0x924602FF, 0x00000100
.long 0xD1350019, 0x00008D00
.long 0x24323282
.long 0xD1000019, 0x012A337D
.long 0x24340082
.long 0xD1FE0018, 0x02060103
.long 0xD1000018, 0x012A317D
.long 0xD1196A01, 0x00010301
.long 0xD1340002, 0x00004D02
.long 0xD1340003, 0x00004903
.long 0xD0C90046, 0x00003100
.long 0xD0C9004A, 0x00003301
.long 0x86CA4A46
.long 0x924602FF, 0x00000100
.long 0xD1350020, 0x00008D00
.long 0x24404082
.long 0xD1000020, 0x012A417D
.long 0x24420082
.long 0xD1FE001B, 0x02060103
.long 0xD100001B, 0x012A377D
.long 0xD1196A01, 0x00010301
.long 0xD1340002, 0x00004D02
.long 0xD1340003, 0x00004903
.long 0xD0C90046, 0x00003100
.long 0xD0C9004A, 0x00003301
.long 0x86CA4A46
.long 0x924602FF, 0x00000100
.long 0xD1350023, 0x00008D00
.long 0x24464682
.long 0xD1000023, 0x012A477D
.long 0x24500082
.long 0xD1FE0022, 0x02060103
.long 0xD1000022, 0x012A457D
.long 0xD1196A01, 0x00011B01
.long 0x92468D26
.long 0xD1340002, 0x00008D02
.long 0x92468D24
.long 0xD1340003, 0x00008D03
.long 0xD0C90046, 0x00003100
.long 0xD0C9004A, 0x00003301
.long 0x86CA4A46
.long 0x924602FF, 0x00000100
.long 0xD135002A, 0x00008D00
.long 0x24545482
.long 0xD100002A, 0x012A557D
.long 0x24560082
.long 0xD1FE0029, 0x02060103
.long 0xD1000029, 0x012A537D
.long 0xD1196A01, 0x00010301
.long 0xD1340002, 0x00004D02
.long 0xD1340003, 0x00004903
.long 0xD0C90046, 0x00003100
.long 0xD0C9004A, 0x00003301
.long 0x86CA4A46
.long 0x924602FF, 0x00000100
.long 0xD1350035, 0x00008D00
.long 0x246A6A82
.long 0xD1000035, 0x012A6B7D
.long 0x246C0082
.long 0xD1FE0034, 0x02060103
.long 0xD1000034, 0x012A697D
.long 0xD1196A01, 0x00010301
.long 0xD1340002, 0x00004D02
.long 0xD1340003, 0x00004903
.long 0xD0C90046, 0x00003100
.long 0xD0C9004A, 0x00003301
.long 0x86CA4A46
.long 0x924602FF, 0x00000100
.long 0xD135003C, 0x00008D00
.long 0x24787882
.long 0xD100003C, 0x012A797D
.long 0x247A0082
.long 0xD1FE0037, 0x02060103
.long 0xD1000037, 0x012A6F7D
.long 0xD1196A01, 0x00010301
.long 0xD1340002, 0x00004D02
.long 0xD1340003, 0x00004903
.long 0xD0C90046, 0x00003100
.long 0xD0C9004A, 0x00003301
.long 0x86CA4A46
.long 0x924602FF, 0x00000100
.long 0xD135003F, 0x00008D00
.long 0x247E7E82
.long 0xD100003F, 0x012A7F7D
.long 0x24880082
.long 0xD1FE003E, 0x02060103
.long 0xD100003E, 0x012A7D7D
.long 0xD1196A01, 0x00011B01
.long 0x92468D26
.long 0xD1340002, 0x00008D02
.long 0x92468D24
.long 0xD1340003, 0x00008D03
.long 0xD0C90046, 0x00003100
.long 0xD0C9004A, 0x00003301
.long 0x86CA4A46
.long 0x924602FF, 0x00000100
.long 0xD1350046, 0x00008D00
.long 0x248C8C82
.long 0xD1000046, 0x012A8D7D
.long 0x248E0082
.long 0xD1FE0045, 0x02060103
.long 0xD1000045, 0x012A8B7D
.long 0xD1196A01, 0x00010301
.long 0xD1340002, 0x00004D02
.long 0xD1340003, 0x00004903
.long 0xD0C90046, 0x00003100
.long 0xD0C9004A, 0x00003301
.long 0x86CA4A46
.long 0x924602FF, 0x00000100
.long 0xD1350051, 0x00008D00
.long 0x24A2A282
.long 0xD1000051, 0x012AA37D
.long 0x24A40082
.long 0xD1FE0050, 0x02060103
.long 0xD1000050, 0x012AA17D
.long 0xD1196A01, 0x00010301
.long 0xD1340002, 0x00004D02
.long 0xD1340003, 0x00004903
.long 0xD0C90046, 0x00003100
.long 0xD0C9004A, 0x00003301
.long 0x86CA4A46
.long 0x924602FF, 0x00000100
.long 0xD1350058, 0x00008D00
.long 0x24B0B082
.long 0xD1000058, 0x012AB17D
.long 0x24B20082
.long 0xD1FE0053, 0x02060103
.long 0xD1000053, 0x012AA77D
.long 0xD1196A01, 0x00010301
.long 0xD1340002, 0x00004D02
.long 0xD1340003, 0x00004903
.long 0xD0C90046, 0x00003100
.long 0xD0C9004A, 0x00003301
.long 0x86CA4A46
.long 0x924602FF, 0x00000100
.long 0xD135005B, 0x00008D00
.long 0x24B6B682
.long 0xD100005B, 0x012AB77D
.long 0x24C00082
.long 0xD1FE005A, 0x02060103
.long 0xD100005A, 0x012AB57D
.long 0xD1196A01, 0x00011B01
.long 0x92468D26
.long 0xD1340002, 0x00008D02
.long 0x92468D24
.long 0xD1340003, 0x00008D03
.long 0xD0C90046, 0x00003100
.long 0xD0C9004A, 0x00003301
.long 0x86CA4A46
.long 0x924602FF, 0x00000100
.long 0xD1350062, 0x00008D00
.long 0x24C4C482
.long 0xD1000062, 0x012AC57D
.long 0x24C60082
.long 0xD1FE0061, 0x02060103
.long 0xD1000061, 0x012AC37D
.long 0xD1196A01, 0x00010301
.long 0xD1340002, 0x00004D02
.long 0xD1340003, 0x00004903
.long 0xD0C90046, 0x00003100
.long 0xD0C9004A, 0x00003301
.long 0x86CA4A46
.long 0x924602FF, 0x00000100
.long 0xD135006D, 0x00008D00
.long 0x24DADA82
.long 0xD100006D, 0x012ADB7D
.long 0x24DC0082
.long 0xD1FE006C, 0x02060103
.long 0xD100006C, 0x012AD97D
.long 0xD1196A01, 0x00010301
.long 0xD1340002, 0x00004D02
.long 0xD1340003, 0x00004903
.long 0xD0C90046, 0x00003100
.long 0xD0C9004A, 0x00003301
.long 0x86CA4A46
.long 0x924602FF, 0x00000100
.long 0xD1350074, 0x00008D00
.long 0x24E8E882
.long 0xD1000074, 0x012AE97D
.long 0x24EA0082
.long 0xD1FE006F, 0x02060103
	;; [unrolled: 13-line block ×3, first 2 shown]
.long 0xD1000076, 0x012AED7D
.long 0xD3D84014, 0x18000180
	;; [unrolled: 1-line block ×65, first 2 shown]
.long 0xBF800001
.long 0x0A28282C
	;; [unrolled: 1-line block ×66, first 2 shown]
.long 0xD0CC0030, 0x0001003E
.long 0xD1000010, 0x00C220F2
.long 0xD1000011, 0x00C222F2
.long 0xD3B14014, 0x18022910
.long 0xD0CC0030, 0x0001003E
.long 0xD1000012, 0x00C224F2
.long 0xD1000013, 0x00C226F2
.long 0xD3B14016, 0x18022D12
.long 0xD3B24004, 0x1802290C
.long 0xD3B24006, 0x18022D0E
.long 0xBEC41E3A
.long 0x7E280304
.long 0x7E2A0305
.long 0x7E2C0306
.long 0x7E2E0307
.long 0x7E281514
.long 0x7E2A1515
.long 0xD2A00014, 0x00022B14
.long 0x7E2C1516
.long 0x7E2E1517
.long 0xD2A00015, 0x00022F16
.long 0xE0741000, 0x80041409
.long 0xD0CC0030, 0x0001003E
.long 0xD1000010, 0x00C220F2
.long 0xD1000011, 0x00C222F2
.long 0xD3B1401C, 0x18023910
.long 0xD0CC0030, 0x0001003E
.long 0xD1000012, 0x00C224F2
.long 0xD1000013, 0x00C226F2
.long 0xD3B1401E, 0x18023D12
.long 0xD3B24004, 0x1802390C
.long 0xD3B24006, 0x18023D0E
.long 0xBEC41E3A
.long 0x7E380304
.long 0x7E3A0305
.long 0x7E3C0306
.long 0x7E3E0307
.long 0x7E38151C
.long 0x7E3A151D
.long 0xD2A0001C, 0x00023B1C
.long 0x7E3C151E
.long 0x7E3E151F
.long 0xD2A0001D, 0x00023F1E
.long 0xE0741000, 0x80041C18
	;; [unrolled: 22-line block ×16, first 2 shown]
.long 0xBF800000
.long 0x7EFA02FF, 0x80000000
.long 0xD1196A01, 0x00011B01
.long 0x92468D26
.long 0xD1340002, 0x00008D02
.long 0x92468D24
.long 0xD1340003, 0x00008D03
.long 0xD0C90046, 0x00003100
	;; [unrolled: 1-line block ×3, first 2 shown]
.long 0x86CA4A46
.long 0x924602FF, 0x00000100
.long 0xD135000A, 0x00008D00
.long 0x24141482
.long 0xD100000A, 0x012A157D
.long 0xD9FE0000, 0x0C00000A
	;; [unrolled: 3-line block ×3, first 2 shown]
.long 0xD1000009, 0x012A137D
.long 0xD1196A01, 0x00010301
.long 0xD1340002, 0x00004D02
.long 0xD1340003, 0x00004903
.long 0xD0C90046, 0x00003100
.long 0xD0C9004A, 0x00003301
.long 0x86CA4A46
.long 0x924602FF, 0x00000100
.long 0xD1350019, 0x00008D00
.long 0x24323282
.long 0xD1000019, 0x012A337D
.long 0x24340082
.long 0xD1FE0018, 0x02060103
.long 0xD1000018, 0x012A317D
.long 0xD1196A01, 0x00010301
.long 0xD1340002, 0x00004D02
.long 0xD1340003, 0x00004903
.long 0xD0C90046, 0x00003100
.long 0xD0C9004A, 0x00003301
.long 0x86CA4A46
.long 0x924602FF, 0x00000100
.long 0xD1350020, 0x00008D00
.long 0x24404082
.long 0xD1000020, 0x012A417D
.long 0x24420082
.long 0xD1FE001B, 0x02060103
.long 0xD100001B, 0x012A377D
.long 0xD1196A01, 0x00010301
.long 0xD1340002, 0x00004D02
.long 0xD1340003, 0x00004903
.long 0xD0C90046, 0x00003100
.long 0xD0C9004A, 0x00003301
.long 0x86CA4A46
.long 0x924602FF, 0x00000100
.long 0xD1350023, 0x00008D00
.long 0x24464682
.long 0xD1000023, 0x012A477D
.long 0x24500082
.long 0xD1FE0022, 0x02060103
.long 0xD1000022, 0x012A457D
.long 0xD1196A01, 0x00011B01
.long 0x92468D26
.long 0xD1340002, 0x00008D02
.long 0x92468D24
.long 0xD1340003, 0x00008D03
.long 0xD0C90046, 0x00003100
.long 0xD0C9004A, 0x00003301
.long 0x86CA4A46
.long 0x924602FF, 0x00000100
.long 0xD135002A, 0x00008D00
.long 0x24545482
.long 0xD100002A, 0x012A557D
.long 0x24560082
.long 0xD1FE0029, 0x02060103
.long 0xD1000029, 0x012A537D
.long 0xD1196A01, 0x00010301
.long 0xD1340002, 0x00004D02
.long 0xD1340003, 0x00004903
.long 0xD0C90046, 0x00003100
.long 0xD0C9004A, 0x00003301
.long 0x86CA4A46
.long 0x924602FF, 0x00000100
.long 0xD1350035, 0x00008D00
.long 0x246A6A82
.long 0xD1000035, 0x012A6B7D
.long 0x246C0082
.long 0xD1FE0034, 0x02060103
.long 0xD1000034, 0x012A697D
.long 0xD1196A01, 0x00010301
.long 0xD1340002, 0x00004D02
.long 0xD1340003, 0x00004903
.long 0xD0C90046, 0x00003100
.long 0xD0C9004A, 0x00003301
.long 0x86CA4A46
.long 0x924602FF, 0x00000100
.long 0xD135003C, 0x00008D00
.long 0x24787882
.long 0xD100003C, 0x012A797D
.long 0x247A0082
.long 0xD1FE0037, 0x02060103
.long 0xD1000037, 0x012A6F7D
.long 0xD1196A01, 0x00010301
.long 0xD1340002, 0x00004D02
.long 0xD1340003, 0x00004903
.long 0xD0C90046, 0x00003100
.long 0xD0C9004A, 0x00003301
.long 0x86CA4A46
.long 0x924602FF, 0x00000100
.long 0xD135003F, 0x00008D00
.long 0x247E7E82
.long 0xD100003F, 0x012A7F7D
.long 0x24880082
.long 0xD1FE003E, 0x02060103
.long 0xD100003E, 0x012A7D7D
.long 0xD1196A01, 0x00011B01
.long 0x92468D26
.long 0xD1340002, 0x00008D02
.long 0x92468D24
.long 0xD1340003, 0x00008D03
.long 0xD0C90046, 0x00003100
.long 0xD0C9004A, 0x00003301
.long 0x86CA4A46
.long 0x924602FF, 0x00000100
.long 0xD1350046, 0x00008D00
.long 0x248C8C82
.long 0xD1000046, 0x012A8D7D
.long 0x248E0082
.long 0xD1FE0045, 0x02060103
	;; [unrolled: 54-line block ×3, first 2 shown]
.long 0xD1000061, 0x012AC37D
.long 0xD1196A01, 0x00010301
.long 0xD1340002, 0x00004D02
.long 0xD1340003, 0x00004903
.long 0xD0C90046, 0x00003100
.long 0xD0C9004A, 0x00003301
.long 0x86CA4A46
.long 0x924602FF, 0x00000100
.long 0xD135006D, 0x00008D00
.long 0x24DADA82
.long 0xD100006D, 0x012ADB7D
.long 0x24DC0082
.long 0xD1FE006C, 0x02060103
.long 0xD100006C, 0x012AD97D
.long 0xD1196A01, 0x00010301
.long 0xD1340002, 0x00004D02
.long 0xD1340003, 0x00004903
.long 0xD0C90046, 0x00003100
.long 0xD0C9004A, 0x00003301
.long 0x86CA4A46
.long 0x924602FF, 0x00000100
.long 0xD1350074, 0x00008D00
.long 0x24E8E882
.long 0xD1000074, 0x012AE97D
.long 0x24EA0082
.long 0xD1FE006F, 0x02060103
	;; [unrolled: 13-line block ×3, first 2 shown]
.long 0xD1000076, 0x012AED7D
.long 0xD3D84014, 0x180001C0
.long 0xD3D84015, 0x180001C4
.long 0xD3D84016, 0x180001C8
.long 0xD3D84017, 0x180001CC
.long 0xD3D8401C, 0x180001C1
.long 0xD3D8401D, 0x180001C5
.long 0xD3D8401E, 0x180001C9
.long 0xD3D8401F, 0x180001CD
.long 0xD3D84024, 0x180001C2
.long 0xD3D84025, 0x180001C6
.long 0xD3D84026, 0x180001CA
.long 0xD3D84027, 0x180001CE
.long 0xD3D8402C, 0x180001C3
.long 0xD3D8402D, 0x180001C7
.long 0xD3D8402E, 0x180001CB
.long 0xD3D8402F, 0x180001CF
.long 0xD3D84030, 0x180001D0
.long 0xD3D84031, 0x180001D4
.long 0xD3D84032, 0x180001D8
.long 0xD3D84033, 0x180001DC
.long 0xD3D84038, 0x180001D1
.long 0xD3D84039, 0x180001D5
.long 0xD3D8403A, 0x180001D9
.long 0xD3D8403B, 0x180001DD
.long 0xD3D84040, 0x180001D2
.long 0xD3D84041, 0x180001D6
.long 0xD3D84042, 0x180001DA
.long 0xD3D84043, 0x180001DE
.long 0xD3D84048, 0x180001D3
.long 0xD3D84049, 0x180001D7
.long 0xD3D8404A, 0x180001DB
.long 0xD3D8404B, 0x180001DF
.long 0xD3D8404C, 0x180001E0
.long 0xD3D8404D, 0x180001E4
.long 0xD3D8404E, 0x180001E8
.long 0xD3D8404F, 0x180001EC
.long 0xD3D84054, 0x180001E1
.long 0xD3D84055, 0x180001E5
.long 0xD3D84056, 0x180001E9
.long 0xD3D84057, 0x180001ED
.long 0xD3D8405C, 0x180001E2
.long 0xD3D8405D, 0x180001E6
.long 0xD3D8405E, 0x180001EA
.long 0xD3D8405F, 0x180001EE
.long 0xD3D84064, 0x180001E3
.long 0xD3D84065, 0x180001E7
.long 0xD3D84066, 0x180001EB
.long 0xD3D84067, 0x180001EF
.long 0xD3D84068, 0x180001F0
.long 0xD3D84069, 0x180001F4
.long 0xD3D8406A, 0x180001F8
.long 0xD3D8406B, 0x180001FC
.long 0xD3D84070, 0x180001F1
.long 0xD3D84071, 0x180001F5
.long 0xD3D84072, 0x180001F9
.long 0xD3D84073, 0x180001FD
.long 0xD3D84078, 0x180001F2
.long 0xD3D84079, 0x180001F6
.long 0xD3D8407A, 0x180001FA
.long 0xD3D8407B, 0x180001FE
.long 0xD3D84080, 0x180001F3
.long 0xD3D84081, 0x180001F7
.long 0xD3D84082, 0x180001FB
.long 0xD3D84083, 0x180001FF
.long 0xBF800001
.long 0x0A28282C
	;; [unrolled: 1-line block ×66, first 2 shown]
.long 0xD0CC0030, 0x0001003E
.long 0xD1000010, 0x00C220F2
.long 0xD1000011, 0x00C222F2
.long 0xD3B14014, 0x18022910
.long 0xD0CC0030, 0x0001003E
.long 0xD1000012, 0x00C224F2
.long 0xD1000013, 0x00C226F2
.long 0xD3B14016, 0x18022D12
.long 0xD3B24004, 0x1802290C
.long 0xD3B24006, 0x18022D0E
.long 0xBEC41E3A
.long 0x7E280304
.long 0x7E2A0305
.long 0x7E2C0306
.long 0x7E2E0307
.long 0x7E281514
.long 0x7E2A1515
.long 0xD2A00014, 0x00022B14
.long 0x7E2C1516
.long 0x7E2E1517
.long 0xD2A00015, 0x00022F16
.long 0xE0741000, 0x80041409
.long 0xD0CC0030, 0x0001003E
.long 0xD1000010, 0x00C220F2
.long 0xD1000011, 0x00C222F2
.long 0xD3B1401C, 0x18023910
.long 0xD0CC0030, 0x0001003E
.long 0xD1000012, 0x00C224F2
.long 0xD1000013, 0x00C226F2
.long 0xD3B1401E, 0x18023D12
.long 0xD3B24004, 0x1802390C
.long 0xD3B24006, 0x18023D0E
.long 0xBEC41E3A
.long 0x7E380304
.long 0x7E3A0305
.long 0x7E3C0306
.long 0x7E3E0307
.long 0x7E38151C
.long 0x7E3A151D
.long 0xD2A0001C, 0x00023B1C
.long 0x7E3C151E
.long 0x7E3E151F
.long 0xD2A0001D, 0x00023F1E
.long 0xE0741000, 0x80041C18
	;; [unrolled: 22-line block ×16, first 2 shown]
.long 0xBF800000
.long 0xBF82258D
.long 0x864618FF, 0x000000FF
.long 0x80470DC1
.long 0xBF094702
	;; [unrolled: 1-line block ×5, first 2 shown]
.long 0x864619FF, 0x000000FF
.long 0x80470EC1
.long 0xBF094703
	;; [unrolled: 1-line block ×5, first 2 shown]
.long 0xD1FE000A, 0x02060102
.long 0xE0541000, 0x80050E0A
	;; [unrolled: 1-line block ×4, first 2 shown]
.long 0x24161682
.long 0xBF8CC07F
	;; [unrolled: 1-line block ×3, first 2 shown]
.long 0xD9FE0000, 0x1000000B
.long 0x24180082
.long 0xE05C1000, 0x800F140C
.long 0x8E468126
.long 0x80144614
.long 0x82158015
.long 0xE0541000, 0x80051C0A
.long 0x8E468126
.long 0x80144614
	;; [unrolled: 4-line block ×15, first 2 shown]
.long 0x82158015
.long 0xE0541000, 0x8005700A
.long 0xD1FE0009, 0x02060103
	;; [unrolled: 1-line block ×66, first 2 shown]
.long 0xBF800001
.long 0x0A30302C
	;; [unrolled: 1-line block ×66, first 2 shown]
.long 0xD0CC0030, 0x0001003E
.long 0xD1000014, 0x00C228F2
	;; [unrolled: 1-line block ×14, first 2 shown]
.long 0xBEC41E3A
.long 0x7E300304
	;; [unrolled: 1-line block ×7, first 2 shown]
.long 0xD2A00018, 0x00023318
.long 0x7E34151A
.long 0x7E36151B
.long 0xD2A00019, 0x0002371A
.long 0xE0741000, 0x80041809
.long 0xBF8C0F7F
.long 0xD0CC0030, 0x0001003E
.long 0xD1000014, 0x00C228F2
.long 0xD1000015, 0x00C22AF2
.long 0xD3B14020, 0x18024114
.long 0xD0CC0030, 0x0001003E
.long 0xD1000016, 0x00C22CF2
.long 0xD1000017, 0x00C22EF2
.long 0xD3B14022, 0x18024516
.long 0xD3A00020, 0x1482382D
.long 0xD3A01021, 0x1486382D
.long 0xD3A00022, 0x148A3A2D
.long 0xD3A01023, 0x148E3A2D
.long 0xD3B24004, 0x18024110
.long 0xD3B24006, 0x18024512
.long 0xBEC41E3A
.long 0x7E400304
.long 0x7E420305
.long 0x7E440306
.long 0x7E460307
.long 0x7E401520
.long 0x7E421521
.long 0xD2A00020, 0x00024320
.long 0x7E441522
.long 0x7E461523
.long 0xD2A00021, 0x00024722
.long 0x8E468124
.long 0x80104610
.long 0x82118011
.long 0xE0741000, 0x80042009
.long 0xBF8C0F7F
.long 0xD0CC0030, 0x0001003E
.long 0xD1000014, 0x00C228F2
.long 0xD1000015, 0x00C22AF2
.long 0xD3B14024, 0x18024914
.long 0xD0CC0030, 0x0001003E
.long 0xD1000016, 0x00C22CF2
.long 0xD1000017, 0x00C22EF2
.long 0xD3B14026, 0x18024D16
.long 0xD3A00024, 0x14923C2D
.long 0xD3A01025, 0x14963C2D
.long 0xD3A00026, 0x149A3E2D
.long 0xD3A01027, 0x149E3E2D
.long 0xD3B24004, 0x18024910
.long 0xD3B24006, 0x18024D12
.long 0xBEC41E3A
.long 0x7E480304
.long 0x7E4A0305
.long 0x7E4C0306
.long 0x7E4E0307
.long 0x7E481524
.long 0x7E4A1525
.long 0xD2A00024, 0x00024B24
.long 0x7E4C1526
.long 0x7E4E1527
.long 0xD2A00025, 0x00024F26
.long 0x8E468124
.long 0x80104610
.long 0x82118011
	;; [unrolled: 30-line block ×15, first 2 shown]
.long 0xE0741000, 0x80047409
.long 0xBF800000
.long 0x92469A26
.long 0x80144614
.long 0x82158015
.long 0xE0541000, 0x80050E0A
.long 0x924602FF, 0x00000100
.long 0xD135000B, 0x00008D00
.long 0x24161682
.long 0xD9FE0000, 0x1000000B
.long 0xE05C1000, 0x800F140C
.long 0x8E468126
.long 0x80144614
.long 0x82158015
.long 0xE0541000, 0x80051C0A
.long 0x8E468126
.long 0x80144614
.long 0x82158015
	;; [unrolled: 4-line block ×15, first 2 shown]
.long 0xE0541000, 0x8005700A
.long 0xD3D84018, 0x18000140
	;; [unrolled: 1-line block ×65, first 2 shown]
.long 0xBF800001
.long 0x0A30302C
	;; [unrolled: 1-line block ×66, first 2 shown]
.long 0xD0CC0030, 0x0001003E
.long 0xD1000014, 0x00C228F2
.long 0xD1000015, 0x00C22AF2
.long 0xD3B14018, 0x18023114
.long 0xD0CC0030, 0x0001003E
.long 0xD1000016, 0x00C22CF2
.long 0xD1000017, 0x00C22EF2
.long 0xD3B1401A, 0x18023516
.long 0xD3A00018, 0x14621C2D
.long 0xD3A01019, 0x14661C2D
.long 0xD3A0001A, 0x146A1E2D
.long 0xD3A0101B, 0x146E1E2D
.long 0xD3B24004, 0x18023110
.long 0xD3B24006, 0x18023512
.long 0xBEC41E3A
.long 0x7E300304
.long 0x7E320305
.long 0x7E340306
.long 0x7E360307
.long 0x7E301518
.long 0x7E321519
.long 0xD2A00018, 0x00023318
.long 0x7E34151A
.long 0x7E36151B
.long 0xD2A00019, 0x0002371A
.long 0x92469A24
.long 0x80104610
.long 0x82118011
.long 0xE0741000, 0x80041809
.long 0xBF8C0F7F
.long 0xD0CC0030, 0x0001003E
.long 0xD1000014, 0x00C228F2
.long 0xD1000015, 0x00C22AF2
.long 0xD3B14020, 0x18024114
.long 0xD0CC0030, 0x0001003E
.long 0xD1000016, 0x00C22CF2
.long 0xD1000017, 0x00C22EF2
.long 0xD3B14022, 0x18024516
.long 0xD3A00020, 0x1482382D
.long 0xD3A01021, 0x1486382D
.long 0xD3A00022, 0x148A3A2D
.long 0xD3A01023, 0x148E3A2D
.long 0xD3B24004, 0x18024110
.long 0xD3B24006, 0x18024512
.long 0xBEC41E3A
.long 0x7E400304
.long 0x7E420305
.long 0x7E440306
.long 0x7E460307
.long 0x7E401520
.long 0x7E421521
.long 0xD2A00020, 0x00024320
.long 0x7E441522
.long 0x7E461523
.long 0xD2A00021, 0x00024722
.long 0x8E468124
.long 0x80104610
.long 0x82118011
.long 0xE0741000, 0x80042009
.long 0xBF8C0F7F
	;; [unrolled: 30-line block ×16, first 2 shown]
.long 0x92469A26
.long 0x80144614
	;; [unrolled: 1-line block ×3, first 2 shown]
.long 0xE0541000, 0x80050E0A
.long 0x924602FF, 0x00000100
	;; [unrolled: 1-line block ×3, first 2 shown]
.long 0x24161682
.long 0xD9FE0000, 0x1000000B
.long 0xE05C1000, 0x800F140C
.long 0x8E468126
.long 0x80144614
.long 0x82158015
.long 0xE0541000, 0x80051C0A
.long 0x8E468126
.long 0x80144614
.long 0x82158015
	;; [unrolled: 4-line block ×15, first 2 shown]
.long 0xE0541000, 0x8005700A
.long 0xD3D84018, 0x18000180
	;; [unrolled: 1-line block ×65, first 2 shown]
.long 0xBF800001
.long 0x0A30302C
	;; [unrolled: 1-line block ×66, first 2 shown]
.long 0xD0CC0030, 0x0001003E
.long 0xD1000014, 0x00C228F2
.long 0xD1000015, 0x00C22AF2
.long 0xD3B14018, 0x18023114
.long 0xD0CC0030, 0x0001003E
.long 0xD1000016, 0x00C22CF2
.long 0xD1000017, 0x00C22EF2
.long 0xD3B1401A, 0x18023516
.long 0xD3A00018, 0x14621C2D
.long 0xD3A01019, 0x14661C2D
.long 0xD3A0001A, 0x146A1E2D
.long 0xD3A0101B, 0x146E1E2D
.long 0xD3B24004, 0x18023110
.long 0xD3B24006, 0x18023512
.long 0xBEC41E3A
.long 0x7E300304
.long 0x7E320305
.long 0x7E340306
.long 0x7E360307
.long 0x7E301518
.long 0x7E321519
.long 0xD2A00018, 0x00023318
.long 0x7E34151A
.long 0x7E36151B
.long 0xD2A00019, 0x0002371A
.long 0x92469A24
.long 0x80104610
.long 0x82118011
.long 0xE0741000, 0x80041809
.long 0xBF8C0F7F
.long 0xD0CC0030, 0x0001003E
.long 0xD1000014, 0x00C228F2
.long 0xD1000015, 0x00C22AF2
.long 0xD3B14020, 0x18024114
.long 0xD0CC0030, 0x0001003E
.long 0xD1000016, 0x00C22CF2
.long 0xD1000017, 0x00C22EF2
.long 0xD3B14022, 0x18024516
.long 0xD3A00020, 0x1482382D
.long 0xD3A01021, 0x1486382D
.long 0xD3A00022, 0x148A3A2D
.long 0xD3A01023, 0x148E3A2D
.long 0xD3B24004, 0x18024110
.long 0xD3B24006, 0x18024512
.long 0xBEC41E3A
.long 0x7E400304
.long 0x7E420305
.long 0x7E440306
.long 0x7E460307
.long 0x7E401520
.long 0x7E421521
.long 0xD2A00020, 0x00024320
.long 0x7E441522
.long 0x7E461523
.long 0xD2A00021, 0x00024722
.long 0x8E468124
.long 0x80104610
.long 0x82118011
.long 0xE0741000, 0x80042009
.long 0xBF8C0F7F
	;; [unrolled: 30-line block ×16, first 2 shown]
.long 0x92469A26
.long 0x80144614
	;; [unrolled: 1-line block ×3, first 2 shown]
.long 0xE0541000, 0x80050E0A
.long 0x924602FF, 0x00000100
	;; [unrolled: 1-line block ×3, first 2 shown]
.long 0x24161682
.long 0xD9FE0000, 0x1000000B
.long 0xE05C1000, 0x800F140C
.long 0x8E468126
.long 0x80144614
.long 0x82158015
.long 0xE0541000, 0x80051C0A
.long 0x8E468126
.long 0x80144614
.long 0x82158015
	;; [unrolled: 4-line block ×15, first 2 shown]
.long 0xE0541000, 0x8005700A
.long 0xD3D84018, 0x180001C0
	;; [unrolled: 1-line block ×65, first 2 shown]
.long 0xBF800001
.long 0x0A30302C
	;; [unrolled: 1-line block ×66, first 2 shown]
.long 0xD0CC0030, 0x0001003E
.long 0xD1000014, 0x00C228F2
.long 0xD1000015, 0x00C22AF2
.long 0xD3B14018, 0x18023114
.long 0xD0CC0030, 0x0001003E
.long 0xD1000016, 0x00C22CF2
.long 0xD1000017, 0x00C22EF2
.long 0xD3B1401A, 0x18023516
.long 0xD3A00018, 0x14621C2D
.long 0xD3A01019, 0x14661C2D
.long 0xD3A0001A, 0x146A1E2D
.long 0xD3A0101B, 0x146E1E2D
.long 0xD3B24004, 0x18023110
.long 0xD3B24006, 0x18023512
.long 0xBEC41E3A
.long 0x7E300304
.long 0x7E320305
.long 0x7E340306
.long 0x7E360307
.long 0x7E301518
.long 0x7E321519
.long 0xD2A00018, 0x00023318
.long 0x7E34151A
.long 0x7E36151B
.long 0xD2A00019, 0x0002371A
.long 0x92469A24
.long 0x80104610
.long 0x82118011
.long 0xE0741000, 0x80041809
.long 0xBF8C0F7F
.long 0xD0CC0030, 0x0001003E
.long 0xD1000014, 0x00C228F2
.long 0xD1000015, 0x00C22AF2
.long 0xD3B14020, 0x18024114
.long 0xD0CC0030, 0x0001003E
.long 0xD1000016, 0x00C22CF2
.long 0xD1000017, 0x00C22EF2
.long 0xD3B14022, 0x18024516
.long 0xD3A00020, 0x1482382D
.long 0xD3A01021, 0x1486382D
.long 0xD3A00022, 0x148A3A2D
.long 0xD3A01023, 0x148E3A2D
.long 0xD3B24004, 0x18024110
.long 0xD3B24006, 0x18024512
.long 0xBEC41E3A
.long 0x7E400304
.long 0x7E420305
.long 0x7E440306
.long 0x7E460307
.long 0x7E401520
.long 0x7E421521
.long 0xD2A00020, 0x00024320
.long 0x7E441522
.long 0x7E461523
.long 0xD2A00021, 0x00024722
.long 0x8E468124
.long 0x80104610
.long 0x82118011
.long 0xE0741000, 0x80042009
.long 0xBF8C0F7F
.long 0xD0CC0030, 0x0001003E
.long 0xD1000014, 0x00C228F2
.long 0xD1000015, 0x00C22AF2
.long 0xD3B14024, 0x18024914
.long 0xD0CC0030, 0x0001003E
.long 0xD1000016, 0x00C22CF2
.long 0xD1000017, 0x00C22EF2
.long 0xD3B14026, 0x18024D16
.long 0xD3A00024, 0x14923C2D
.long 0xD3A01025, 0x14963C2D
.long 0xD3A00026, 0x149A3E2D
.long 0xD3A01027, 0x149E3E2D
.long 0xD3B24004, 0x18024910
.long 0xD3B24006, 0x18024D12
.long 0xBEC41E3A
.long 0x7E480304
.long 0x7E4A0305
.long 0x7E4C0306
.long 0x7E4E0307
.long 0x7E481524
.long 0x7E4A1525
.long 0xD2A00024, 0x00024B24
.long 0x7E4C1526
.long 0x7E4E1527
.long 0xD2A00025, 0x00024F26
.long 0x8E468124
.long 0x80104610
.long 0x82118011
.long 0xE0741000, 0x80042409
.long 0xBF8C0F7F
.long 0xD0CC0030, 0x0001003E
.long 0xD1000014, 0x00C228F2
.long 0xD1000015, 0x00C22AF2
.long 0xD3B1402C, 0x18025914
.long 0xD0CC0030, 0x0001003E
.long 0xD1000016, 0x00C22CF2
.long 0xD1000017, 0x00C22EF2
.long 0xD3B1402E, 0x18025D16
.long 0xD3A0002C, 0x14B2502D
.long 0xD3A0102D, 0x14B6502D
.long 0xD3A0002E, 0x14BA522D
.long 0xD3A0102F, 0x14BE522D
.long 0xD3B24004, 0x18025910
.long 0xD3B24006, 0x18025D12
.long 0xBEC41E3A
.long 0x7E580304
.long 0x7E5A0305
.long 0x7E5C0306
.long 0x7E5E0307
.long 0x7E58152C
.long 0x7E5A152D
.long 0xD2A0002C, 0x00025B2C
.long 0x7E5C152E
.long 0x7E5E152F
.long 0xD2A0002D, 0x00025F2E
.long 0x8E468124
.long 0x80104610
.long 0x82118011
.long 0xE0741000, 0x80042C09
.long 0xBF8C0F7F
.long 0xD0CC0030, 0x0001003E
.long 0xD1000014, 0x00C228F2
.long 0xD1000015, 0x00C22AF2
.long 0xD3B14030, 0x18026114
.long 0xD0CC0030, 0x0001003E
.long 0xD1000016, 0x00C22CF2
.long 0xD1000017, 0x00C22EF2
.long 0xD3B14032, 0x18026516
.long 0xD3A00030, 0x14C2542D
.long 0xD3A01031, 0x14C6542D
.long 0xD3A00032, 0x14CA562D
.long 0xD3A01033, 0x14CE562D
.long 0xD3B24004, 0x18026110
.long 0xD3B24006, 0x18026512
.long 0xBEC41E3A
.long 0x7E600304
.long 0x7E620305
.long 0x7E640306
.long 0x7E660307
.long 0x7E601530
.long 0x7E621531
.long 0xD2A00030, 0x00026330
.long 0x7E641532
.long 0x7E661533
.long 0xD2A00031, 0x00026732
.long 0x92469A24
.long 0x80104610
.long 0x82118011
.long 0xE0741000, 0x80043009
.long 0xBF8C0F7F
.long 0xD0CC0030, 0x0001003E
.long 0xD1000014, 0x00C228F2
.long 0xD1000015, 0x00C22AF2
.long 0xD3B14038, 0x18027114
.long 0xD0CC0030, 0x0001003E
.long 0xD1000016, 0x00C22CF2
.long 0xD1000017, 0x00C22EF2
.long 0xD3B1403A, 0x18027516
.long 0xD3A00038, 0x14E2682D
.long 0xD3A01039, 0x14E6682D
.long 0xD3A0003A, 0x14EA6A2D
.long 0xD3A0103B, 0x14EE6A2D
.long 0xD3B24004, 0x18027110
.long 0xD3B24006, 0x18027512
.long 0xBEC41E3A
.long 0x7E700304
.long 0x7E720305
.long 0x7E740306
.long 0x7E760307
.long 0x7E701538
.long 0x7E721539
.long 0xD2A00038, 0x00027338
.long 0x7E74153A
.long 0x7E76153B
.long 0xD2A00039, 0x0002773A
.long 0x8E468124
.long 0x80104610
.long 0x82118011
.long 0xE0741000, 0x80043809
.long 0xBF8C0F7F
.long 0xD0CC0030, 0x0001003E
.long 0xD1000014, 0x00C228F2
.long 0xD1000015, 0x00C22AF2
.long 0xD3B1403C, 0x18027914
.long 0xD0CC0030, 0x0001003E
.long 0xD1000016, 0x00C22CF2
.long 0xD1000017, 0x00C22EF2
.long 0xD3B1403E, 0x18027D16
.long 0xD3A0003C, 0x14F26C2D
.long 0xD3A0103D, 0x14F66C2D
.long 0xD3A0003E, 0x14FA6E2D
.long 0xD3A0103F, 0x14FE6E2D
.long 0xD3B24004, 0x18027910
.long 0xD3B24006, 0x18027D12
.long 0xBEC41E3A
.long 0x7E780304
.long 0x7E7A0305
.long 0x7E7C0306
.long 0x7E7E0307
.long 0x7E78153C
.long 0x7E7A153D
.long 0xD2A0003C, 0x00027B3C
.long 0x7E7C153E
.long 0x7E7E153F
.long 0xD2A0003D, 0x00027F3E
.long 0x8E468124
.long 0x80104610
.long 0x82118011
.long 0xE0741000, 0x80043C09
.long 0xBF8C0F7F
.long 0xD0CC0030, 0x0001003E
.long 0xD1000014, 0x00C228F2
.long 0xD1000015, 0x00C22AF2
.long 0xD3B14044, 0x18028914
.long 0xD0CC0030, 0x0001003E
.long 0xD1000016, 0x00C22CF2
.long 0xD1000017, 0x00C22EF2
.long 0xD3B14046, 0x18028D16
.long 0xD3A00044, 0x1512802D
.long 0xD3A01045, 0x1516802D
.long 0xD3A00046, 0x151A822D
.long 0xD3A01047, 0x151E822D
.long 0xD3B24004, 0x18028910
.long 0xD3B24006, 0x18028D12
.long 0xBEC41E3A
.long 0x7E880304
.long 0x7E8A0305
.long 0x7E8C0306
.long 0x7E8E0307
.long 0x7E881544
.long 0x7E8A1545
.long 0xD2A00044, 0x00028B44
.long 0x7E8C1546
.long 0x7E8E1547
.long 0xD2A00045, 0x00028F46
.long 0x8E468124
.long 0x80104610
.long 0x82118011
.long 0xE0741000, 0x80044409
.long 0xBF8C0F7F
.long 0xD0CC0030, 0x0001003E
.long 0xD1000014, 0x00C228F2
.long 0xD1000015, 0x00C22AF2
.long 0xD3B14048, 0x18029114
.long 0xD0CC0030, 0x0001003E
.long 0xD1000016, 0x00C22CF2
.long 0xD1000017, 0x00C22EF2
.long 0xD3B1404A, 0x18029516
.long 0xD3A00048, 0x1522842D
.long 0xD3A01049, 0x1526842D
.long 0xD3A0004A, 0x152A862D
.long 0xD3A0104B, 0x152E862D
.long 0xD3B24004, 0x18029110
.long 0xD3B24006, 0x18029512
.long 0xBEC41E3A
.long 0x7E900304
.long 0x7E920305
.long 0x7E940306
.long 0x7E960307
.long 0x7E901548
.long 0x7E921549
.long 0xD2A00048, 0x00029348
.long 0x7E94154A
.long 0x7E96154B
.long 0xD2A00049, 0x0002974A
.long 0x92469A24
.long 0x80104610
.long 0x82118011
.long 0xE0741000, 0x80044809
.long 0xBF8C0F7F
.long 0xD0CC0030, 0x0001003E
.long 0xD1000014, 0x00C228F2
.long 0xD1000015, 0x00C22AF2
.long 0xD3B14050, 0x1802A114
.long 0xD0CC0030, 0x0001003E
.long 0xD1000016, 0x00C22CF2
.long 0xD1000017, 0x00C22EF2
.long 0xD3B14052, 0x1802A516
.long 0xD3A00050, 0x1542982D
.long 0xD3A01051, 0x1546982D
.long 0xD3A00052, 0x154A9A2D
.long 0xD3A01053, 0x154E9A2D
.long 0xD3B24004, 0x1802A110
.long 0xD3B24006, 0x1802A512
.long 0xBEC41E3A
.long 0x7EA00304
.long 0x7EA20305
.long 0x7EA40306
.long 0x7EA60307
.long 0x7EA01550
.long 0x7EA21551
.long 0xD2A00050, 0x0002A350
.long 0x7EA41552
.long 0x7EA61553
.long 0xD2A00051, 0x0002A752
.long 0x8E468124
.long 0x80104610
.long 0x82118011
.long 0xE0741000, 0x80045009
.long 0xBF8C0F7F
.long 0xD0CC0030, 0x0001003E
.long 0xD1000014, 0x00C228F2
.long 0xD1000015, 0x00C22AF2
.long 0xD3B14054, 0x1802A914
.long 0xD0CC0030, 0x0001003E
.long 0xD1000016, 0x00C22CF2
.long 0xD1000017, 0x00C22EF2
.long 0xD3B14056, 0x1802AD16
.long 0xD3A00054, 0x15529C2D
.long 0xD3A01055, 0x15569C2D
.long 0xD3A00056, 0x155A9E2D
.long 0xD3A01057, 0x155E9E2D
.long 0xD3B24004, 0x1802A910
.long 0xD3B24006, 0x1802AD12
.long 0xBEC41E3A
.long 0x7EA80304
.long 0x7EAA0305
.long 0x7EAC0306
.long 0x7EAE0307
.long 0x7EA81554
.long 0x7EAA1555
.long 0xD2A00054, 0x0002AB54
.long 0x7EAC1556
.long 0x7EAE1557
.long 0xD2A00055, 0x0002AF56
.long 0x8E468124
.long 0x80104610
.long 0x82118011
.long 0xE0741000, 0x80045409
.long 0xBF8C0F7F
.long 0xD0CC0030, 0x0001003E
.long 0xD1000014, 0x00C228F2
.long 0xD1000015, 0x00C22AF2
.long 0xD3B1405C, 0x1802B914
.long 0xD0CC0030, 0x0001003E
.long 0xD1000016, 0x00C22CF2
.long 0xD1000017, 0x00C22EF2
.long 0xD3B1405E, 0x1802BD16
.long 0xD3A0005C, 0x1572B02D
.long 0xD3A0105D, 0x1576B02D
.long 0xD3A0005E, 0x157AB22D
.long 0xD3A0105F, 0x157EB22D
.long 0xD3B24004, 0x1802B910
.long 0xD3B24006, 0x1802BD12
.long 0xBEC41E3A
.long 0x7EB80304
.long 0x7EBA0305
.long 0x7EBC0306
.long 0x7EBE0307
.long 0x7EB8155C
.long 0x7EBA155D
.long 0xD2A0005C, 0x0002BB5C
.long 0x7EBC155E
.long 0x7EBE155F
.long 0xD2A0005D, 0x0002BF5E
.long 0x8E468124
.long 0x80104610
.long 0x82118011
.long 0xE0741000, 0x80045C09
.long 0xBF8C0F7F
.long 0xD0CC0030, 0x0001003E
.long 0xD1000014, 0x00C228F2
.long 0xD1000015, 0x00C22AF2
.long 0xD3B14060, 0x1802C114
.long 0xD0CC0030, 0x0001003E
.long 0xD1000016, 0x00C22CF2
.long 0xD1000017, 0x00C22EF2
.long 0xD3B14062, 0x1802C516
.long 0xD3A00060, 0x1582B42D
.long 0xD3A01061, 0x1586B42D
.long 0xD3A00062, 0x158AB62D
.long 0xD3A01063, 0x158EB62D
.long 0xD3B24004, 0x1802C110
.long 0xD3B24006, 0x1802C512
.long 0xBEC41E3A
.long 0x7EC00304
.long 0x7EC20305
.long 0x7EC40306
.long 0x7EC60307
.long 0x7EC01560
.long 0x7EC21561
.long 0xD2A00060, 0x0002C360
.long 0x7EC41562
.long 0x7EC61563
.long 0xD2A00061, 0x0002C762
.long 0x92469A24
.long 0x80104610
.long 0x82118011
.long 0xE0741000, 0x80046009
.long 0xBF8C0F7F
.long 0xD0CC0030, 0x0001003E
.long 0xD1000014, 0x00C228F2
.long 0xD1000015, 0x00C22AF2
.long 0xD3B14068, 0x1802D114
.long 0xD0CC0030, 0x0001003E
.long 0xD1000016, 0x00C22CF2
.long 0xD1000017, 0x00C22EF2
.long 0xD3B1406A, 0x1802D516
.long 0xD3A00068, 0x15A2C82D
.long 0xD3A01069, 0x15A6C82D
.long 0xD3A0006A, 0x15AACA2D
.long 0xD3A0106B, 0x15AECA2D
.long 0xD3B24004, 0x1802D110
.long 0xD3B24006, 0x1802D512
.long 0xBEC41E3A
.long 0x7ED00304
.long 0x7ED20305
.long 0x7ED40306
.long 0x7ED60307
.long 0x7ED01568
.long 0x7ED21569
.long 0xD2A00068, 0x0002D368
.long 0x7ED4156A
.long 0x7ED6156B
.long 0xD2A00069, 0x0002D76A
.long 0x8E468124
.long 0x80104610
.long 0x82118011
.long 0xE0741000, 0x80046809
.long 0xBF8C0F7F
.long 0xD0CC0030, 0x0001003E
.long 0xD1000014, 0x00C228F2
.long 0xD1000015, 0x00C22AF2
.long 0xD3B1406C, 0x1802D914
.long 0xD0CC0030, 0x0001003E
.long 0xD1000016, 0x00C22CF2
.long 0xD1000017, 0x00C22EF2
.long 0xD3B1406E, 0x1802DD16
.long 0xD3A0006C, 0x15B2CC2D
.long 0xD3A0106D, 0x15B6CC2D
.long 0xD3A0006E, 0x15BACE2D
.long 0xD3A0106F, 0x15BECE2D
.long 0xD3B24004, 0x1802D910
.long 0xD3B24006, 0x1802DD12
.long 0xBEC41E3A
.long 0x7ED80304
.long 0x7EDA0305
.long 0x7EDC0306
.long 0x7EDE0307
.long 0x7ED8156C
.long 0x7EDA156D
.long 0xD2A0006C, 0x0002DB6C
.long 0x7EDC156E
.long 0x7EDE156F
.long 0xD2A0006D, 0x0002DF6E
.long 0x8E468124
.long 0x80104610
.long 0x82118011
.long 0xE0741000, 0x80046C09
.long 0xBF8C0F7F
.long 0xD0CC0030, 0x0001003E
.long 0xD1000014, 0x00C228F2
.long 0xD1000015, 0x00C22AF2
.long 0xD3B14074, 0x1802E914
.long 0xD0CC0030, 0x0001003E
.long 0xD1000016, 0x00C22CF2
.long 0xD1000017, 0x00C22EF2
.long 0xD3B14076, 0x1802ED16
.long 0xD3A00074, 0x15D2E02D
.long 0xD3A01075, 0x15D6E02D
.long 0xD3A00076, 0x15DAE22D
.long 0xD3A01077, 0x15DEE22D
.long 0xD3B24004, 0x1802E910
.long 0xD3B24006, 0x1802ED12
.long 0xBEC41E3A
.long 0x7EE80304
.long 0x7EEA0305
.long 0x7EEC0306
.long 0x7EEE0307
.long 0x7EE81574
.long 0x7EEA1575
.long 0xD2A00074, 0x0002EB74
.long 0x7EEC1576
.long 0x7EEE1577
.long 0xD2A00075, 0x0002EF76
.long 0x8E468124
.long 0x80104610
.long 0x82118011
.long 0xE0741000, 0x80047409
.long 0xBF800000
.long 0xBF821551
.long 0x7EEE02FF, 0x80000000
.long 0xD0C90046, 0x00003100
	;; [unrolled: 1-line block ×3, first 2 shown]
.long 0x86CA4A46
.long 0xD1FE0009, 0x02060102
.long 0xD1000009, 0x012A1377
	;; [unrolled: 1-line block ×5, first 2 shown]
.long 0x24141482
.long 0xD100000A, 0x012A1577
.long 0xBF8CC07F
.long 0xBF8A0000
.long 0xD9FE0000, 0x1000000A
.long 0x24160082
.long 0xE05C1000, 0x800F140B
.long 0xD1FE0009, 0x02060103
	;; [unrolled: 1-line block ×8, first 2 shown]
.long 0x86CA4A46
.long 0xD1FE000E, 0x02060102
.long 0xD100000E, 0x012A1D77
	;; [unrolled: 1-line block ×5, first 2 shown]
.long 0x241E1E82
.long 0xD100000F, 0x012A1F77
.long 0x24380082
.long 0xD1FE000E, 0x02060103
.long 0xD100000E, 0x012A1D77
	;; [unrolled: 1-line block ×7, first 2 shown]
.long 0x86CA4A46
.long 0xD1FE001D, 0x02060102
.long 0xD100001D, 0x012A3B77
	;; [unrolled: 1-line block ×5, first 2 shown]
.long 0x24484882
.long 0xD1000024, 0x012A4977
.long 0x244A0082
.long 0xD1FE001D, 0x02060103
.long 0xD100001D, 0x012A3B77
	;; [unrolled: 1-line block ×7, first 2 shown]
.long 0x86CA4A46
.long 0xD1FE002C, 0x02060102
.long 0xD100002C, 0x012A5977
	;; [unrolled: 1-line block ×5, first 2 shown]
.long 0x245A5A82
.long 0xD100002D, 0x012A5B77
.long 0x245C0082
.long 0xD1FE002C, 0x02060103
.long 0xD100002C, 0x012A5977
	;; [unrolled: 1-line block ×3, first 2 shown]
.long 0x92468D26
.long 0xD1340002, 0x00008D02
.long 0x92468D24
.long 0xD1340003, 0x00008D03
.long 0xD0C90046, 0x00003100
.long 0xD0C9004A, 0x00003301
.long 0x86CA4A46
.long 0xD1FE002F, 0x02060102
.long 0xD100002F, 0x012A5F77
.long 0xE0541000, 0x8005382F
.long 0x924602FF, 0x00000100
.long 0xD1350032, 0x00008D00
.long 0x24646482
.long 0xD1000032, 0x012A6577
.long 0x24660082
.long 0xD1FE002F, 0x02060103
.long 0xD100002F, 0x012A5F77
.long 0xD1196A01, 0x00010301
.long 0xD1340002, 0x00004D02
.long 0xD1340003, 0x00004903
.long 0xD0C90046, 0x00003100
.long 0xD0C9004A, 0x00003301
.long 0x86CA4A46
.long 0xD1FE003A, 0x02060102
.long 0xD100003A, 0x012A7577
.long 0xE0541000, 0x8005423A
.long 0x924602FF, 0x00000100
.long 0xD135003B, 0x00008D00
.long 0x24767682
.long 0xD100003B, 0x012A7777
.long 0x24800082
.long 0xD1FE003A, 0x02060103
.long 0xD100003A, 0x012A7577
.long 0xD1196A01, 0x00010301
.long 0xD1340002, 0x00004D02
	;; [unrolled: 16-line block ×3, first 2 shown]
.long 0xD1340003, 0x00004903
.long 0xD0C90046, 0x00003100
	;; [unrolled: 1-line block ×3, first 2 shown]
.long 0x86CA4A46
.long 0xD1FE0050, 0x02060102
.long 0xD1000050, 0x012AA177
	;; [unrolled: 1-line block ×5, first 2 shown]
.long 0x24A2A282
.long 0xD1000051, 0x012AA377
.long 0x24A40082
.long 0xD1FE0050, 0x02060103
.long 0xD1000050, 0x012AA177
	;; [unrolled: 1-line block ×3, first 2 shown]
.long 0x92468D26
.long 0xD1340002, 0x00008D02
.long 0x92468D24
.long 0xD1340003, 0x00008D03
.long 0xD0C90046, 0x00003100
.long 0xD0C9004A, 0x00003301
.long 0x86CA4A46
.long 0xD1FE0053, 0x02060102
.long 0xD1000053, 0x012AA777
.long 0xE0541000, 0x80055C53
.long 0x924602FF, 0x00000100
.long 0xD1350056, 0x00008D00
.long 0x24ACAC82
.long 0xD1000056, 0x012AAD77
.long 0x24AE0082
.long 0xD1FE0053, 0x02060103
.long 0xD1000053, 0x012AA777
.long 0xD1196A01, 0x00010301
.long 0xD1340002, 0x00004D02
.long 0xD1340003, 0x00004903
.long 0xD0C90046, 0x00003100
.long 0xD0C9004A, 0x00003301
.long 0x86CA4A46
.long 0xD1FE005E, 0x02060102
.long 0xD100005E, 0x012ABD77
.long 0xE0541000, 0x8005665E
.long 0x924602FF, 0x00000100
.long 0xD135005F, 0x00008D00
.long 0x24BEBE82
.long 0xD100005F, 0x012ABF77
.long 0x24C80082
.long 0xD1FE005E, 0x02060103
.long 0xD100005E, 0x012ABD77
.long 0xD1196A01, 0x00010301
.long 0xD1340002, 0x00004D02
	;; [unrolled: 16-line block ×4, first 2 shown]
.long 0xD3D8401A, 0x18000108
.long 0xD3D8401B, 0x1800010C
.long 0xD3D84020, 0x18000101
.long 0xD3D84021, 0x18000105
.long 0xD3D84022, 0x18000109
.long 0xD3D84023, 0x1800010D
.long 0xD3D84028, 0x18000102
.long 0xD3D84029, 0x18000106
.long 0xD3D8402A, 0x1800010A
.long 0xD3D8402B, 0x1800010E
.long 0xD3D84034, 0x18000103
.long 0xD3D84035, 0x18000107
.long 0xD3D84036, 0x1800010B
.long 0xD3D84037, 0x1800010F
.long 0xD3D8403C, 0x18000110
.long 0xD3D8403D, 0x18000114
.long 0xD3D8403E, 0x18000118
.long 0xD3D8403F, 0x1800011C
.long 0xD3D84044, 0x18000111
.long 0xD3D84045, 0x18000115
.long 0xD3D84046, 0x18000119
.long 0xD3D84047, 0x1800011D
.long 0xD3D8404C, 0x18000112
.long 0xD3D8404D, 0x18000116
.long 0xD3D8404E, 0x1800011A
.long 0xD3D8404F, 0x1800011E
.long 0xD3D84058, 0x18000113
.long 0xD3D84059, 0x18000117
.long 0xD3D8405A, 0x1800011B
.long 0xD3D8405B, 0x1800011F
.long 0xD3D84060, 0x18000120
.long 0xD3D84061, 0x18000124
.long 0xD3D84062, 0x18000128
.long 0xD3D84063, 0x1800012C
.long 0xD3D84068, 0x18000121
.long 0xD3D84069, 0x18000125
.long 0xD3D8406A, 0x18000129
.long 0xD3D8406B, 0x1800012D
.long 0xD3D84070, 0x18000122
.long 0xD3D84071, 0x18000126
.long 0xD3D84072, 0x1800012A
.long 0xD3D84073, 0x1800012E
.long 0xD3D8407C, 0x18000123
.long 0xD3D8407D, 0x18000127
.long 0xD3D8407E, 0x1800012B
.long 0xD3D8407F, 0x1800012F
.long 0xBF800001
.long 0x0A30302C
	;; [unrolled: 1-line block ×50, first 2 shown]
.long 0xD0CC0030, 0x0001003E
.long 0xD1000014, 0x00C228F2
.long 0xD1000015, 0x00C22AF2
.long 0xD3B14018, 0x18023114
.long 0xD0CC0030, 0x0001003E
.long 0xD1000016, 0x00C22CF2
.long 0xD1000017, 0x00C22EF2
.long 0xD3B1401A, 0x18023516
.long 0xD3A00018, 0x1462182D
.long 0xD3A01019, 0x1466182D
.long 0xD3A0001A, 0x146A1A2D
.long 0xD3A0101B, 0x146E1A2D
.long 0xD3B24004, 0x18023110
.long 0xD3B24006, 0x18023512
.long 0xBEC41E3A
.long 0x7E300304
.long 0x7E320305
.long 0x7E340306
.long 0x7E360307
.long 0x7E301518
.long 0x7E321519
.long 0xD2A00018, 0x00023318
.long 0x7E34151A
.long 0x7E36151B
.long 0xD2A00019, 0x0002371A
.long 0xE0741000, 0x80041809
.long 0xD0CC0030, 0x0001003E
.long 0xD1000014, 0x00C228F2
.long 0xD1000015, 0x00C22AF2
.long 0xD3B14020, 0x18024114
.long 0xD0CC0030, 0x0001003E
.long 0xD1000016, 0x00C22CF2
.long 0xD1000017, 0x00C22EF2
.long 0xD3B14022, 0x18024516
.long 0xD3A00020, 0x14823C2D
.long 0xD3A01021, 0x14863C2D
.long 0xD3A00022, 0x148A3E2D
.long 0xD3A01023, 0x148E3E2D
.long 0xD3B24004, 0x18024110
.long 0xD3B24006, 0x18024512
.long 0xBEC41E3A
.long 0x7E400304
.long 0x7E420305
.long 0x7E440306
.long 0x7E460307
.long 0x7E401520
.long 0x7E421521
.long 0xD2A00020, 0x00024320
.long 0x7E441522
.long 0x7E461523
.long 0xD2A00021, 0x00024722
.long 0xE0741000, 0x8004200E
	;; [unrolled: 26-line block ×12, first 2 shown]
.long 0xBF800000
.long 0x7EEE02FF, 0x80000000
.long 0xD1196A01, 0x00011B01
.long 0x92468D26
.long 0xD1340002, 0x00008D02
.long 0x92468D24
.long 0xD1340003, 0x00008D03
.long 0xD0C90046, 0x00003100
	;; [unrolled: 1-line block ×3, first 2 shown]
.long 0x86CA4A46
.long 0xD1FE0009, 0x02060102
.long 0xD1000009, 0x012A1377
	;; [unrolled: 1-line block ×5, first 2 shown]
.long 0x24141482
.long 0xD100000A, 0x012A1577
.long 0xD9FE0000, 0x1000000A
.long 0x24160082
.long 0xE05C1000, 0x800F140B
.long 0xD1FE0009, 0x02060103
	;; [unrolled: 1-line block ×8, first 2 shown]
.long 0x86CA4A46
.long 0xD1FE000E, 0x02060102
.long 0xD100000E, 0x012A1D77
	;; [unrolled: 1-line block ×5, first 2 shown]
.long 0x241E1E82
.long 0xD100000F, 0x012A1F77
.long 0x24380082
.long 0xD1FE000E, 0x02060103
.long 0xD100000E, 0x012A1D77
	;; [unrolled: 1-line block ×7, first 2 shown]
.long 0x86CA4A46
.long 0xD1FE001D, 0x02060102
.long 0xD100001D, 0x012A3B77
	;; [unrolled: 1-line block ×5, first 2 shown]
.long 0x24484882
.long 0xD1000024, 0x012A4977
.long 0x244A0082
.long 0xD1FE001D, 0x02060103
.long 0xD100001D, 0x012A3B77
	;; [unrolled: 1-line block ×7, first 2 shown]
.long 0x86CA4A46
.long 0xD1FE002C, 0x02060102
.long 0xD100002C, 0x012A5977
	;; [unrolled: 1-line block ×5, first 2 shown]
.long 0x245A5A82
.long 0xD100002D, 0x012A5B77
.long 0x245C0082
.long 0xD1FE002C, 0x02060103
.long 0xD100002C, 0x012A5977
.long 0xD1196A01, 0x00011B01
.long 0x92468D26
.long 0xD1340002, 0x00008D02
.long 0x92468D24
.long 0xD1340003, 0x00008D03
.long 0xD0C90046, 0x00003100
.long 0xD0C9004A, 0x00003301
.long 0x86CA4A46
.long 0xD1FE002F, 0x02060102
.long 0xD100002F, 0x012A5F77
.long 0xE0541000, 0x8005382F
.long 0x924602FF, 0x00000100
.long 0xD1350032, 0x00008D00
.long 0x24646482
.long 0xD1000032, 0x012A6577
.long 0x24660082
.long 0xD1FE002F, 0x02060103
.long 0xD100002F, 0x012A5F77
.long 0xD1196A01, 0x00010301
.long 0xD1340002, 0x00004D02
.long 0xD1340003, 0x00004903
.long 0xD0C90046, 0x00003100
.long 0xD0C9004A, 0x00003301
.long 0x86CA4A46
.long 0xD1FE003A, 0x02060102
.long 0xD100003A, 0x012A7577
.long 0xE0541000, 0x8005423A
.long 0x924602FF, 0x00000100
.long 0xD135003B, 0x00008D00
.long 0x24767682
.long 0xD100003B, 0x012A7777
.long 0x24800082
.long 0xD1FE003A, 0x02060103
.long 0xD100003A, 0x012A7577
.long 0xD1196A01, 0x00010301
.long 0xD1340002, 0x00004D02
	;; [unrolled: 16-line block ×3, first 2 shown]
.long 0xD1340003, 0x00004903
.long 0xD0C90046, 0x00003100
	;; [unrolled: 1-line block ×3, first 2 shown]
.long 0x86CA4A46
.long 0xD1FE0050, 0x02060102
.long 0xD1000050, 0x012AA177
	;; [unrolled: 1-line block ×5, first 2 shown]
.long 0x24A2A282
.long 0xD1000051, 0x012AA377
.long 0x24A40082
.long 0xD1FE0050, 0x02060103
.long 0xD1000050, 0x012AA177
	;; [unrolled: 1-line block ×3, first 2 shown]
.long 0x92468D26
.long 0xD1340002, 0x00008D02
.long 0x92468D24
.long 0xD1340003, 0x00008D03
.long 0xD0C90046, 0x00003100
.long 0xD0C9004A, 0x00003301
.long 0x86CA4A46
.long 0xD1FE0053, 0x02060102
.long 0xD1000053, 0x012AA777
.long 0xE0541000, 0x80055C53
.long 0x924602FF, 0x00000100
.long 0xD1350056, 0x00008D00
.long 0x24ACAC82
.long 0xD1000056, 0x012AAD77
.long 0x24AE0082
.long 0xD1FE0053, 0x02060103
.long 0xD1000053, 0x012AA777
.long 0xD1196A01, 0x00010301
.long 0xD1340002, 0x00004D02
.long 0xD1340003, 0x00004903
.long 0xD0C90046, 0x00003100
.long 0xD0C9004A, 0x00003301
.long 0x86CA4A46
.long 0xD1FE005E, 0x02060102
.long 0xD100005E, 0x012ABD77
.long 0xE0541000, 0x8005665E
.long 0x924602FF, 0x00000100
.long 0xD135005F, 0x00008D00
.long 0x24BEBE82
.long 0xD100005F, 0x012ABF77
.long 0x24C80082
.long 0xD1FE005E, 0x02060103
.long 0xD100005E, 0x012ABD77
.long 0xD1196A01, 0x00010301
.long 0xD1340002, 0x00004D02
	;; [unrolled: 16-line block ×4, first 2 shown]
.long 0xD3D8401A, 0x18000138
.long 0xD3D8401B, 0x1800013C
	;; [unrolled: 1-line block ×46, first 2 shown]
.long 0xBF800001
.long 0x0A30302C
	;; [unrolled: 1-line block ×50, first 2 shown]
.long 0xD0CC0030, 0x0001003E
.long 0xD1000014, 0x00C228F2
.long 0xD1000015, 0x00C22AF2
.long 0xD3B14018, 0x18023114
.long 0xD0CC0030, 0x0001003E
.long 0xD1000016, 0x00C22CF2
.long 0xD1000017, 0x00C22EF2
.long 0xD3B1401A, 0x18023516
.long 0xD3A00018, 0x1462182D
.long 0xD3A01019, 0x1466182D
.long 0xD3A0001A, 0x146A1A2D
.long 0xD3A0101B, 0x146E1A2D
.long 0xD3B24004, 0x18023110
.long 0xD3B24006, 0x18023512
.long 0xBEC41E3A
.long 0x7E300304
.long 0x7E320305
.long 0x7E340306
.long 0x7E360307
.long 0x7E301518
.long 0x7E321519
.long 0xD2A00018, 0x00023318
.long 0x7E34151A
.long 0x7E36151B
.long 0xD2A00019, 0x0002371A
.long 0xE0741000, 0x80041809
.long 0xD0CC0030, 0x0001003E
.long 0xD1000014, 0x00C228F2
.long 0xD1000015, 0x00C22AF2
.long 0xD3B14020, 0x18024114
.long 0xD0CC0030, 0x0001003E
.long 0xD1000016, 0x00C22CF2
.long 0xD1000017, 0x00C22EF2
.long 0xD3B14022, 0x18024516
.long 0xD3A00020, 0x14823C2D
.long 0xD3A01021, 0x14863C2D
.long 0xD3A00022, 0x148A3E2D
.long 0xD3A01023, 0x148E3E2D
.long 0xD3B24004, 0x18024110
.long 0xD3B24006, 0x18024512
.long 0xBEC41E3A
.long 0x7E400304
.long 0x7E420305
.long 0x7E440306
.long 0x7E460307
.long 0x7E401520
.long 0x7E421521
.long 0xD2A00020, 0x00024320
.long 0x7E441522
.long 0x7E461523
.long 0xD2A00021, 0x00024722
.long 0xE0741000, 0x8004200E
	;; [unrolled: 26-line block ×12, first 2 shown]
.long 0xBF800000
.long 0x7EEE02FF, 0x80000000
.long 0xD1196A01, 0x00011B01
.long 0x92468D26
.long 0xD1340002, 0x00008D02
.long 0x92468D24
.long 0xD1340003, 0x00008D03
.long 0xD0C90046, 0x00003100
	;; [unrolled: 1-line block ×3, first 2 shown]
.long 0x86CA4A46
.long 0xD1FE0009, 0x02060102
.long 0xD1000009, 0x012A1377
	;; [unrolled: 1-line block ×5, first 2 shown]
.long 0x24141482
.long 0xD100000A, 0x012A1577
.long 0xD9FE0000, 0x1000000A
.long 0x24160082
.long 0xE05C1000, 0x800F140B
.long 0xD1FE0009, 0x02060103
	;; [unrolled: 1-line block ×8, first 2 shown]
.long 0x86CA4A46
.long 0xD1FE000E, 0x02060102
.long 0xD100000E, 0x012A1D77
	;; [unrolled: 1-line block ×5, first 2 shown]
.long 0x241E1E82
.long 0xD100000F, 0x012A1F77
.long 0x24380082
.long 0xD1FE000E, 0x02060103
.long 0xD100000E, 0x012A1D77
	;; [unrolled: 1-line block ×7, first 2 shown]
.long 0x86CA4A46
.long 0xD1FE001D, 0x02060102
.long 0xD100001D, 0x012A3B77
	;; [unrolled: 1-line block ×5, first 2 shown]
.long 0x24484882
.long 0xD1000024, 0x012A4977
.long 0x244A0082
.long 0xD1FE001D, 0x02060103
.long 0xD100001D, 0x012A3B77
	;; [unrolled: 1-line block ×7, first 2 shown]
.long 0x86CA4A46
.long 0xD1FE002C, 0x02060102
.long 0xD100002C, 0x012A5977
	;; [unrolled: 1-line block ×5, first 2 shown]
.long 0x245A5A82
.long 0xD100002D, 0x012A5B77
.long 0x245C0082
.long 0xD1FE002C, 0x02060103
.long 0xD100002C, 0x012A5977
	;; [unrolled: 1-line block ×3, first 2 shown]
.long 0x92468D26
.long 0xD1340002, 0x00008D02
.long 0x92468D24
.long 0xD1340003, 0x00008D03
.long 0xD0C90046, 0x00003100
.long 0xD0C9004A, 0x00003301
.long 0x86CA4A46
.long 0xD1FE002F, 0x02060102
.long 0xD100002F, 0x012A5F77
.long 0xE0541000, 0x8005382F
.long 0x924602FF, 0x00000100
.long 0xD1350032, 0x00008D00
.long 0x24646482
.long 0xD1000032, 0x012A6577
.long 0x24660082
.long 0xD1FE002F, 0x02060103
.long 0xD100002F, 0x012A5F77
.long 0xD1196A01, 0x00010301
.long 0xD1340002, 0x00004D02
.long 0xD1340003, 0x00004903
.long 0xD0C90046, 0x00003100
.long 0xD0C9004A, 0x00003301
.long 0x86CA4A46
.long 0xD1FE003A, 0x02060102
.long 0xD100003A, 0x012A7577
.long 0xE0541000, 0x8005423A
.long 0x924602FF, 0x00000100
.long 0xD135003B, 0x00008D00
.long 0x24767682
.long 0xD100003B, 0x012A7777
.long 0x24800082
.long 0xD1FE003A, 0x02060103
.long 0xD100003A, 0x012A7577
.long 0xD1196A01, 0x00010301
.long 0xD1340002, 0x00004D02
	;; [unrolled: 16-line block ×3, first 2 shown]
.long 0xD1340003, 0x00004903
.long 0xD0C90046, 0x00003100
.long 0xD0C9004A, 0x00003301
.long 0x86CA4A46
.long 0xD1FE0050, 0x02060102
.long 0xD1000050, 0x012AA177
.long 0xE0541000, 0x80055450
.long 0x924602FF, 0x00000100
.long 0xD1350051, 0x00008D00
.long 0x24A2A282
.long 0xD1000051, 0x012AA377
.long 0x24A40082
.long 0xD1FE0050, 0x02060103
.long 0xD1000050, 0x012AA177
	;; [unrolled: 1-line block ×3, first 2 shown]
.long 0x92468D26
.long 0xD1340002, 0x00008D02
.long 0x92468D24
.long 0xD1340003, 0x00008D03
.long 0xD0C90046, 0x00003100
.long 0xD0C9004A, 0x00003301
.long 0x86CA4A46
.long 0xD1FE0053, 0x02060102
.long 0xD1000053, 0x012AA777
.long 0xE0541000, 0x80055C53
.long 0x924602FF, 0x00000100
.long 0xD1350056, 0x00008D00
.long 0x24ACAC82
.long 0xD1000056, 0x012AAD77
.long 0x24AE0082
.long 0xD1FE0053, 0x02060103
.long 0xD1000053, 0x012AA777
.long 0xD1196A01, 0x00010301
.long 0xD1340002, 0x00004D02
.long 0xD1340003, 0x00004903
.long 0xD0C90046, 0x00003100
.long 0xD0C9004A, 0x00003301
.long 0x86CA4A46
.long 0xD1FE005E, 0x02060102
.long 0xD100005E, 0x012ABD77
.long 0xE0541000, 0x8005665E
.long 0x924602FF, 0x00000100
.long 0xD135005F, 0x00008D00
.long 0x24BEBE82
.long 0xD100005F, 0x012ABF77
.long 0x24C80082
.long 0xD1FE005E, 0x02060103
.long 0xD100005E, 0x012ABD77
.long 0xD1196A01, 0x00010301
.long 0xD1340002, 0x00004D02
	;; [unrolled: 16-line block ×4, first 2 shown]
.long 0xD3D8401A, 0x18000168
.long 0xD3D8401B, 0x1800016C
	;; [unrolled: 1-line block ×46, first 2 shown]
.long 0xBF800001
.long 0x0A30302C
	;; [unrolled: 1-line block ×50, first 2 shown]
.long 0xD0CC0030, 0x0001003E
.long 0xD1000014, 0x00C228F2
.long 0xD1000015, 0x00C22AF2
.long 0xD3B14018, 0x18023114
.long 0xD0CC0030, 0x0001003E
.long 0xD1000016, 0x00C22CF2
.long 0xD1000017, 0x00C22EF2
.long 0xD3B1401A, 0x18023516
.long 0xD3A00018, 0x1462182D
.long 0xD3A01019, 0x1466182D
.long 0xD3A0001A, 0x146A1A2D
.long 0xD3A0101B, 0x146E1A2D
.long 0xD3B24004, 0x18023110
.long 0xD3B24006, 0x18023512
.long 0xBEC41E3A
.long 0x7E300304
.long 0x7E320305
.long 0x7E340306
.long 0x7E360307
.long 0x7E301518
.long 0x7E321519
.long 0xD2A00018, 0x00023318
.long 0x7E34151A
.long 0x7E36151B
.long 0xD2A00019, 0x0002371A
.long 0xE0741000, 0x80041809
.long 0xD0CC0030, 0x0001003E
.long 0xD1000014, 0x00C228F2
.long 0xD1000015, 0x00C22AF2
.long 0xD3B14020, 0x18024114
.long 0xD0CC0030, 0x0001003E
.long 0xD1000016, 0x00C22CF2
.long 0xD1000017, 0x00C22EF2
.long 0xD3B14022, 0x18024516
.long 0xD3A00020, 0x14823C2D
.long 0xD3A01021, 0x14863C2D
.long 0xD3A00022, 0x148A3E2D
.long 0xD3A01023, 0x148E3E2D
.long 0xD3B24004, 0x18024110
.long 0xD3B24006, 0x18024512
.long 0xBEC41E3A
.long 0x7E400304
.long 0x7E420305
.long 0x7E440306
.long 0x7E460307
.long 0x7E401520
.long 0x7E421521
.long 0xD2A00020, 0x00024320
.long 0x7E441522
.long 0x7E461523
.long 0xD2A00021, 0x00024722
.long 0xE0741000, 0x8004200E
	;; [unrolled: 26-line block ×12, first 2 shown]
.long 0xBF800000
.long 0x7EEE02FF, 0x80000000
.long 0xD1196A01, 0x00011B01
.long 0x92468D26
.long 0xD1340002, 0x00008D02
.long 0x92468D24
.long 0xD1340003, 0x00008D03
.long 0xD0C90046, 0x00003100
	;; [unrolled: 1-line block ×3, first 2 shown]
.long 0x86CA4A46
.long 0xD1FE0009, 0x02060102
.long 0xD1000009, 0x012A1377
	;; [unrolled: 1-line block ×5, first 2 shown]
.long 0x24141482
.long 0xD100000A, 0x012A1577
.long 0xD9FE0000, 0x1000000A
.long 0x24160082
.long 0xE05C1000, 0x800F140B
.long 0xD1FE0009, 0x02060103
	;; [unrolled: 1-line block ×8, first 2 shown]
.long 0x86CA4A46
.long 0xD1FE000E, 0x02060102
.long 0xD100000E, 0x012A1D77
	;; [unrolled: 1-line block ×5, first 2 shown]
.long 0x241E1E82
.long 0xD100000F, 0x012A1F77
.long 0x24380082
.long 0xD1FE000E, 0x02060103
.long 0xD100000E, 0x012A1D77
	;; [unrolled: 1-line block ×7, first 2 shown]
.long 0x86CA4A46
.long 0xD1FE001D, 0x02060102
.long 0xD100001D, 0x012A3B77
	;; [unrolled: 1-line block ×5, first 2 shown]
.long 0x24484882
.long 0xD1000024, 0x012A4977
.long 0x244A0082
.long 0xD1FE001D, 0x02060103
.long 0xD100001D, 0x012A3B77
	;; [unrolled: 1-line block ×7, first 2 shown]
.long 0x86CA4A46
.long 0xD1FE002C, 0x02060102
.long 0xD100002C, 0x012A5977
	;; [unrolled: 1-line block ×5, first 2 shown]
.long 0x245A5A82
.long 0xD100002D, 0x012A5B77
.long 0x245C0082
.long 0xD1FE002C, 0x02060103
.long 0xD100002C, 0x012A5977
	;; [unrolled: 1-line block ×3, first 2 shown]
.long 0x92468D26
.long 0xD1340002, 0x00008D02
.long 0x92468D24
.long 0xD1340003, 0x00008D03
.long 0xD0C90046, 0x00003100
.long 0xD0C9004A, 0x00003301
.long 0x86CA4A46
.long 0xD1FE002F, 0x02060102
.long 0xD100002F, 0x012A5F77
.long 0xE0541000, 0x8005382F
.long 0x924602FF, 0x00000100
.long 0xD1350032, 0x00008D00
.long 0x24646482
.long 0xD1000032, 0x012A6577
.long 0x24660082
.long 0xD1FE002F, 0x02060103
.long 0xD100002F, 0x012A5F77
.long 0xD1196A01, 0x00010301
.long 0xD1340002, 0x00004D02
.long 0xD1340003, 0x00004903
.long 0xD0C90046, 0x00003100
.long 0xD0C9004A, 0x00003301
.long 0x86CA4A46
.long 0xD1FE003A, 0x02060102
.long 0xD100003A, 0x012A7577
.long 0xE0541000, 0x8005423A
.long 0x924602FF, 0x00000100
.long 0xD135003B, 0x00008D00
.long 0x24767682
.long 0xD100003B, 0x012A7777
.long 0x24800082
.long 0xD1FE003A, 0x02060103
.long 0xD100003A, 0x012A7577
.long 0xD1196A01, 0x00010301
.long 0xD1340002, 0x00004D02
	;; [unrolled: 16-line block ×3, first 2 shown]
.long 0xD1340003, 0x00004903
.long 0xD0C90046, 0x00003100
.long 0xD0C9004A, 0x00003301
.long 0x86CA4A46
.long 0xD1FE0050, 0x02060102
.long 0xD1000050, 0x012AA177
	;; [unrolled: 1-line block ×5, first 2 shown]
.long 0x24A2A282
.long 0xD1000051, 0x012AA377
.long 0x24A40082
.long 0xD1FE0050, 0x02060103
.long 0xD1000050, 0x012AA177
	;; [unrolled: 1-line block ×3, first 2 shown]
.long 0x92468D26
.long 0xD1340002, 0x00008D02
.long 0x92468D24
.long 0xD1340003, 0x00008D03
.long 0xD0C90046, 0x00003100
.long 0xD0C9004A, 0x00003301
.long 0x86CA4A46
.long 0xD1FE0053, 0x02060102
.long 0xD1000053, 0x012AA777
.long 0xE0541000, 0x80055C53
.long 0x924602FF, 0x00000100
.long 0xD1350056, 0x00008D00
.long 0x24ACAC82
.long 0xD1000056, 0x012AAD77
.long 0x24AE0082
.long 0xD1FE0053, 0x02060103
.long 0xD1000053, 0x012AA777
.long 0xD1196A01, 0x00010301
.long 0xD1340002, 0x00004D02
.long 0xD1340003, 0x00004903
.long 0xD0C90046, 0x00003100
.long 0xD0C9004A, 0x00003301
.long 0x86CA4A46
.long 0xD1FE005E, 0x02060102
.long 0xD100005E, 0x012ABD77
.long 0xE0541000, 0x8005665E
.long 0x924602FF, 0x00000100
.long 0xD135005F, 0x00008D00
.long 0x24BEBE82
.long 0xD100005F, 0x012ABF77
.long 0x24C80082
.long 0xD1FE005E, 0x02060103
.long 0xD100005E, 0x012ABD77
.long 0xD1196A01, 0x00010301
.long 0xD1340002, 0x00004D02
	;; [unrolled: 16-line block ×4, first 2 shown]
.long 0xD3D8401A, 0x18000198
.long 0xD3D8401B, 0x1800019C
.long 0xD3D84020, 0x18000191
.long 0xD3D84021, 0x18000195
.long 0xD3D84022, 0x18000199
.long 0xD3D84023, 0x1800019D
.long 0xD3D84028, 0x18000192
.long 0xD3D84029, 0x18000196
.long 0xD3D8402A, 0x1800019A
.long 0xD3D8402B, 0x1800019E
.long 0xD3D84034, 0x18000193
.long 0xD3D84035, 0x18000197
.long 0xD3D84036, 0x1800019B
.long 0xD3D84037, 0x1800019F
.long 0xD3D8403C, 0x180001A0
.long 0xD3D8403D, 0x180001A4
.long 0xD3D8403E, 0x180001A8
.long 0xD3D8403F, 0x180001AC
.long 0xD3D84044, 0x180001A1
.long 0xD3D84045, 0x180001A5
.long 0xD3D84046, 0x180001A9
.long 0xD3D84047, 0x180001AD
.long 0xD3D8404C, 0x180001A2
.long 0xD3D8404D, 0x180001A6
.long 0xD3D8404E, 0x180001AA
.long 0xD3D8404F, 0x180001AE
.long 0xD3D84058, 0x180001A3
.long 0xD3D84059, 0x180001A7
.long 0xD3D8405A, 0x180001AB
.long 0xD3D8405B, 0x180001AF
.long 0xD3D84060, 0x180001B0
.long 0xD3D84061, 0x180001B4
.long 0xD3D84062, 0x180001B8
.long 0xD3D84063, 0x180001BC
.long 0xD3D84068, 0x180001B1
.long 0xD3D84069, 0x180001B5
.long 0xD3D8406A, 0x180001B9
.long 0xD3D8406B, 0x180001BD
.long 0xD3D84070, 0x180001B2
.long 0xD3D84071, 0x180001B6
.long 0xD3D84072, 0x180001BA
.long 0xD3D84073, 0x180001BE
.long 0xD3D8407C, 0x180001B3
.long 0xD3D8407D, 0x180001B7
.long 0xD3D8407E, 0x180001BB
.long 0xD3D8407F, 0x180001BF
.long 0xBF800001
.long 0x0A30302C
	;; [unrolled: 1-line block ×50, first 2 shown]
.long 0xD0CC0030, 0x0001003E
.long 0xD1000014, 0x00C228F2
.long 0xD1000015, 0x00C22AF2
.long 0xD3B14018, 0x18023114
.long 0xD0CC0030, 0x0001003E
.long 0xD1000016, 0x00C22CF2
.long 0xD1000017, 0x00C22EF2
.long 0xD3B1401A, 0x18023516
.long 0xD3A00018, 0x1462182D
.long 0xD3A01019, 0x1466182D
.long 0xD3A0001A, 0x146A1A2D
.long 0xD3A0101B, 0x146E1A2D
.long 0xD3B24004, 0x18023110
.long 0xD3B24006, 0x18023512
.long 0xBEC41E3A
.long 0x7E300304
.long 0x7E320305
.long 0x7E340306
.long 0x7E360307
.long 0x7E301518
.long 0x7E321519
.long 0xD2A00018, 0x00023318
.long 0x7E34151A
.long 0x7E36151B
.long 0xD2A00019, 0x0002371A
.long 0xE0741000, 0x80041809
.long 0xD0CC0030, 0x0001003E
.long 0xD1000014, 0x00C228F2
.long 0xD1000015, 0x00C22AF2
.long 0xD3B14020, 0x18024114
.long 0xD0CC0030, 0x0001003E
.long 0xD1000016, 0x00C22CF2
.long 0xD1000017, 0x00C22EF2
.long 0xD3B14022, 0x18024516
.long 0xD3A00020, 0x14823C2D
.long 0xD3A01021, 0x14863C2D
.long 0xD3A00022, 0x148A3E2D
.long 0xD3A01023, 0x148E3E2D
.long 0xD3B24004, 0x18024110
.long 0xD3B24006, 0x18024512
.long 0xBEC41E3A
.long 0x7E400304
.long 0x7E420305
.long 0x7E440306
.long 0x7E460307
.long 0x7E401520
.long 0x7E421521
.long 0xD2A00020, 0x00024320
.long 0x7E441522
.long 0x7E461523
.long 0xD2A00021, 0x00024722
.long 0xE0741000, 0x8004200E
	;; [unrolled: 26-line block ×12, first 2 shown]
.long 0xBF800000
.long 0x7EEE02FF, 0x80000000
.long 0xD1196A01, 0x00011B01
.long 0x92468D26
.long 0xD1340002, 0x00008D02
.long 0x92468D24
.long 0xD1340003, 0x00008D03
.long 0xD0C90046, 0x00003100
	;; [unrolled: 1-line block ×3, first 2 shown]
.long 0x86CA4A46
.long 0xD1FE0009, 0x02060102
.long 0xD1000009, 0x012A1377
	;; [unrolled: 1-line block ×5, first 2 shown]
.long 0x24141482
.long 0xD100000A, 0x012A1577
.long 0xD9FE0000, 0x1000000A
.long 0x24160082
.long 0xE05C1000, 0x800F140B
.long 0xD1FE0009, 0x02060103
	;; [unrolled: 1-line block ×8, first 2 shown]
.long 0x86CA4A46
.long 0xD1FE000E, 0x02060102
.long 0xD100000E, 0x012A1D77
	;; [unrolled: 1-line block ×5, first 2 shown]
.long 0x241E1E82
.long 0xD100000F, 0x012A1F77
.long 0x24380082
.long 0xD1FE000E, 0x02060103
.long 0xD100000E, 0x012A1D77
	;; [unrolled: 1-line block ×7, first 2 shown]
.long 0x86CA4A46
.long 0xD1FE001D, 0x02060102
.long 0xD100001D, 0x012A3B77
	;; [unrolled: 1-line block ×5, first 2 shown]
.long 0x24484882
.long 0xD1000024, 0x012A4977
.long 0x244A0082
.long 0xD1FE001D, 0x02060103
.long 0xD100001D, 0x012A3B77
	;; [unrolled: 1-line block ×7, first 2 shown]
.long 0x86CA4A46
.long 0xD1FE002C, 0x02060102
.long 0xD100002C, 0x012A5977
.long 0xE0541000, 0x8005302C
.long 0x924602FF, 0x00000100
.long 0xD135002D, 0x00008D00
.long 0x245A5A82
.long 0xD100002D, 0x012A5B77
.long 0x245C0082
.long 0xD1FE002C, 0x02060103
.long 0xD100002C, 0x012A5977
.long 0xD1196A01, 0x00011B01
.long 0x92468D26
.long 0xD1340002, 0x00008D02
.long 0x92468D24
.long 0xD1340003, 0x00008D03
.long 0xD0C90046, 0x00003100
.long 0xD0C9004A, 0x00003301
.long 0x86CA4A46
.long 0xD1FE002F, 0x02060102
.long 0xD100002F, 0x012A5F77
.long 0xE0541000, 0x8005382F
.long 0x924602FF, 0x00000100
.long 0xD1350032, 0x00008D00
.long 0x24646482
.long 0xD1000032, 0x012A6577
.long 0x24660082
.long 0xD1FE002F, 0x02060103
.long 0xD100002F, 0x012A5F77
.long 0xD1196A01, 0x00010301
.long 0xD1340002, 0x00004D02
.long 0xD1340003, 0x00004903
.long 0xD0C90046, 0x00003100
.long 0xD0C9004A, 0x00003301
.long 0x86CA4A46
.long 0xD1FE003A, 0x02060102
.long 0xD100003A, 0x012A7577
.long 0xE0541000, 0x8005423A
.long 0x924602FF, 0x00000100
.long 0xD135003B, 0x00008D00
.long 0x24767682
.long 0xD100003B, 0x012A7777
.long 0x24800082
.long 0xD1FE003A, 0x02060103
.long 0xD100003A, 0x012A7577
.long 0xD1196A01, 0x00010301
.long 0xD1340002, 0x00004D02
	;; [unrolled: 16-line block ×3, first 2 shown]
.long 0xD1340003, 0x00004903
.long 0xD0C90046, 0x00003100
.long 0xD0C9004A, 0x00003301
.long 0x86CA4A46
.long 0xD1FE0050, 0x02060102
.long 0xD1000050, 0x012AA177
	;; [unrolled: 1-line block ×5, first 2 shown]
.long 0x24A2A282
.long 0xD1000051, 0x012AA377
.long 0x24A40082
.long 0xD1FE0050, 0x02060103
.long 0xD1000050, 0x012AA177
	;; [unrolled: 1-line block ×3, first 2 shown]
.long 0x92468D26
.long 0xD1340002, 0x00008D02
.long 0x92468D24
.long 0xD1340003, 0x00008D03
.long 0xD0C90046, 0x00003100
.long 0xD0C9004A, 0x00003301
.long 0x86CA4A46
.long 0xD1FE0053, 0x02060102
.long 0xD1000053, 0x012AA777
.long 0xE0541000, 0x80055C53
.long 0x924602FF, 0x00000100
.long 0xD1350056, 0x00008D00
.long 0x24ACAC82
.long 0xD1000056, 0x012AAD77
.long 0x24AE0082
.long 0xD1FE0053, 0x02060103
.long 0xD1000053, 0x012AA777
.long 0xD1196A01, 0x00010301
.long 0xD1340002, 0x00004D02
.long 0xD1340003, 0x00004903
.long 0xD0C90046, 0x00003100
.long 0xD0C9004A, 0x00003301
.long 0x86CA4A46
.long 0xD1FE005E, 0x02060102
.long 0xD100005E, 0x012ABD77
.long 0xE0541000, 0x8005665E
.long 0x924602FF, 0x00000100
.long 0xD135005F, 0x00008D00
.long 0x24BEBE82
.long 0xD100005F, 0x012ABF77
.long 0x24C80082
.long 0xD1FE005E, 0x02060103
.long 0xD100005E, 0x012ABD77
.long 0xD1196A01, 0x00010301
.long 0xD1340002, 0x00004D02
	;; [unrolled: 16-line block ×4, first 2 shown]
.long 0xD3D8401A, 0x180001C8
.long 0xD3D8401B, 0x180001CC
	;; [unrolled: 1-line block ×46, first 2 shown]
.long 0xBF800001
.long 0x0A30302C
	;; [unrolled: 1-line block ×50, first 2 shown]
.long 0xD0CC0030, 0x0001003E
.long 0xD1000014, 0x00C228F2
.long 0xD1000015, 0x00C22AF2
.long 0xD3B14018, 0x18023114
.long 0xD0CC0030, 0x0001003E
.long 0xD1000016, 0x00C22CF2
.long 0xD1000017, 0x00C22EF2
.long 0xD3B1401A, 0x18023516
.long 0xD3A00018, 0x1462182D
.long 0xD3A01019, 0x1466182D
.long 0xD3A0001A, 0x146A1A2D
.long 0xD3A0101B, 0x146E1A2D
.long 0xD3B24004, 0x18023110
.long 0xD3B24006, 0x18023512
.long 0xBEC41E3A
.long 0x7E300304
.long 0x7E320305
.long 0x7E340306
.long 0x7E360307
.long 0x7E301518
.long 0x7E321519
.long 0xD2A00018, 0x00023318
.long 0x7E34151A
.long 0x7E36151B
.long 0xD2A00019, 0x0002371A
.long 0xE0741000, 0x80041809
.long 0xD0CC0030, 0x0001003E
.long 0xD1000014, 0x00C228F2
.long 0xD1000015, 0x00C22AF2
.long 0xD3B14020, 0x18024114
.long 0xD0CC0030, 0x0001003E
.long 0xD1000016, 0x00C22CF2
.long 0xD1000017, 0x00C22EF2
.long 0xD3B14022, 0x18024516
.long 0xD3A00020, 0x14823C2D
.long 0xD3A01021, 0x14863C2D
.long 0xD3A00022, 0x148A3E2D
.long 0xD3A01023, 0x148E3E2D
.long 0xD3B24004, 0x18024110
.long 0xD3B24006, 0x18024512
.long 0xBEC41E3A
.long 0x7E400304
.long 0x7E420305
.long 0x7E440306
.long 0x7E460307
.long 0x7E401520
.long 0x7E421521
.long 0xD2A00020, 0x00024320
.long 0x7E441522
.long 0x7E461523
.long 0xD2A00021, 0x00024722
.long 0xE0741000, 0x8004200E
	;; [unrolled: 26-line block ×12, first 2 shown]
.long 0xBF800000
.long 0x7E5E02FF, 0x80000000
.long 0xD1196A01, 0x00011B01
.long 0x92468D26
.long 0xD1340002, 0x00008D02
.long 0x92468D24
.long 0xD1340003, 0x00008D03
.long 0xD0C90046, 0x00003100
	;; [unrolled: 1-line block ×3, first 2 shown]
.long 0x86CA4A46
.long 0xD1FE0009, 0x02060102
.long 0xD1000009, 0x012A132F
.long 0xE0541000, 0x80050C09
.long 0x924602FF, 0x00000100
.long 0xD135000A, 0x00008D00
.long 0x24141482
.long 0xD100000A, 0x012A152F
.long 0xD9FE0000, 0x1000000A
.long 0x24160082
.long 0xE05C1000, 0x800F140B
.long 0xD1FE0009, 0x02060103
	;; [unrolled: 1-line block ×8, first 2 shown]
.long 0x86CA4A46
.long 0xD1FE000E, 0x02060102
.long 0xD100000E, 0x012A1D2F
.long 0xE0541000, 0x80051E0E
.long 0x924602FF, 0x00000100
.long 0xD135000F, 0x00008D00
.long 0x241E1E82
.long 0xD100000F, 0x012A1F2F
.long 0x24380082
.long 0xD1FE000E, 0x02060103
.long 0xD100000E, 0x012A1D2F
.long 0xD1196A01, 0x00010301
.long 0xD1340002, 0x00004D02
.long 0xD1340003, 0x00004903
.long 0xD0C90046, 0x00003100
.long 0xD0C9004A, 0x00003301
.long 0x86CA4A46
.long 0xD1FE001D, 0x02060102
.long 0xD100001D, 0x012A3B2F
.long 0xE0541000, 0x8005261D
.long 0x924602FF, 0x00000100
.long 0xD1350024, 0x00008D00
.long 0x24484882
.long 0xD1000024, 0x012A492F
.long 0x244A0082
.long 0xD1FE001D, 0x02060103
.long 0xD100001D, 0x012A3B2F
.long 0xD1196A01, 0x00010301
.long 0xD1340002, 0x00004D02
.long 0xD1340003, 0x00004903
.long 0xD0C90046, 0x00003100
.long 0xD0C9004A, 0x00003301
	;; [unrolled: 16-line block ×3, first 2 shown]
.long 0xD3D84021, 0x180001F5
.long 0xD3D84022, 0x180001F9
	;; [unrolled: 1-line block ×11, first 2 shown]
.long 0xBF800001
.long 0x0A30302C
	;; [unrolled: 1-line block ×18, first 2 shown]
.long 0xD0CC0030, 0x0001003E
.long 0xD1000014, 0x00C228F2
.long 0xD1000015, 0x00C22AF2
.long 0xD3B14018, 0x18023114
.long 0xD0CC0030, 0x0001003E
.long 0xD1000016, 0x00C22CF2
.long 0xD1000017, 0x00C22EF2
.long 0xD3B1401A, 0x18023516
.long 0xD3A00018, 0x1462182D
.long 0xD3A01019, 0x1466182D
.long 0xD3A0001A, 0x146A1A2D
.long 0xD3A0101B, 0x146E1A2D
.long 0xD3B24004, 0x18023110
.long 0xD3B24006, 0x18023512
.long 0xBEC41E3A
.long 0x7E300304
.long 0x7E320305
.long 0x7E340306
.long 0x7E360307
.long 0x7E301518
.long 0x7E321519
.long 0xD2A00018, 0x00023318
.long 0x7E34151A
.long 0x7E36151B
.long 0xD2A00019, 0x0002371A
.long 0xE0741000, 0x80041809
.long 0xD0CC0030, 0x0001003E
.long 0xD1000014, 0x00C228F2
.long 0xD1000015, 0x00C22AF2
.long 0xD3B14020, 0x18024114
.long 0xD0CC0030, 0x0001003E
.long 0xD1000016, 0x00C22CF2
.long 0xD1000017, 0x00C22EF2
.long 0xD3B14022, 0x18024516
.long 0xD3A00020, 0x14823C2D
.long 0xD3A01021, 0x14863C2D
.long 0xD3A00022, 0x148A3E2D
.long 0xD3A01023, 0x148E3E2D
.long 0xD3B24004, 0x18024110
.long 0xD3B24006, 0x18024512
.long 0xBEC41E3A
.long 0x7E400304
.long 0x7E420305
.long 0x7E440306
.long 0x7E460307
.long 0x7E401520
.long 0x7E421521
.long 0xD2A00020, 0x00024320
.long 0x7E441522
.long 0x7E461523
.long 0xD2A00021, 0x00024722
.long 0xE0741000, 0x8004200E
	;; [unrolled: 26-line block ×4, first 2 shown]
.long 0xBF800000
.long 0xBF820000
	;; [unrolled: 1-line block ×4, first 2 shown]
.long 0x260808FF, 0x7FFFFFFF
.long 0x260A0AFF, 0x7FFFFFFF
	;; [unrolled: 1-line block ×4, first 2 shown]
.long 0xBE801D44
.long 0xD044006A, 0x00006D04
.long 0x14080837
.long 0x00080880
.long 0xD044006A, 0x00006D05
.long 0x140A0A37
	;; [unrolled: 3-line block ×4, first 2 shown]
.long 0x000E0E80
.long 0xBE801D44
.long 0x0A1008FF, 0x3D372713
.long 0xD1CB0008, 0x03CA1104
.long 0x0A101104
.long 0x0A1010FF, 0x40135761
.long 0x7E104108
.long 0xBF800000
.long 0x021010F2
.long 0x7E104508
.long 0xBF800000
.long 0xD1CB0008, 0x03D210F5
.long 0x0A101104
.long 0x0A0810F0
.long 0x0A100AFF, 0x3D372713
.long 0xD1CB0008, 0x03CA1105
.long 0x0A101105
.long 0x0A1010FF, 0x40135761
.long 0x7E104108
.long 0xBF800000
.long 0x021010F2
.long 0x7E104508
.long 0xBF800000
.long 0xD1CB0008, 0x03D210F5
	;; [unrolled: 12-line block ×4, first 2 shown]
.long 0x0A101107
.long 0x0A0E10F0
	;; [unrolled: 1-line block ×4, first 2 shown]
.long 0xD046006A, 0x00010104
.long 0x00080908
.long 0x0A100A36
.long 0xD046006A, 0x00010105
.long 0x000A0B08
.long 0x0A100C36
.long 0xD046006A, 0x00010106
.long 0x000C0D08
.long 0x0A100E36
.long 0xD046006A, 0x00010107
.long 0x000E0F08
.long 0xBE801D44
.long 0xD10B0004, 0x00010104
.long 0xD10B0005, 0x00010105
	;; [unrolled: 1-line block ×4, first 2 shown]
.long 0xBE801D44
.long 0x0A0808FF, 0xBFB8AA3B
.long 0x7E084104
.long 0xBF800000
.long 0x020808F2
.long 0x7E084504
.long 0xBF800000
.long 0x0A0A0AFF, 0xBFB8AA3B
.long 0x7E0A4105
.long 0xBF800000
.long 0x020A0AF2
.long 0x7E0A4505
	;; [unrolled: 6-line block ×4, first 2 shown]
.long 0xBF800000
.long 0xBE801D44
	;; [unrolled: 1-line block ×3, first 2 shown]
.long 0x0A0808FF, 0x4038AA3B
.long 0x7E084104
.long 0xBF800000
.long 0x020808F2
.long 0x7E084504
.long 0xBF800000
.long 0xD1CB0004, 0x03CA08F5
.long 0x0A080837
.long 0x0A0A0A36
.long 0x0A0A0AFF, 0x4038AA3B
.long 0x7E0A4105
.long 0xBF800000
.long 0x020A0AF2
.long 0x7E0A4505
.long 0xBF800000
.long 0xD1CB0005, 0x03CA0AF5
.long 0x0A0A0A37
.long 0x0A0C0C36
	;; [unrolled: 9-line block ×4, first 2 shown]
.long 0x0A1008FF, 0x3D372713
.long 0xD1CB0008, 0x03CA1104
.long 0x0A101104
.long 0x0A1010FF, 0x40135761
.long 0x7E104108
.long 0xBF800000
.long 0x021010F2
.long 0x7E104508
.long 0xBF800000
.long 0xD1CB0008, 0x03D210F5
.long 0x0A101104
.long 0x0A1010F0
.long 0x0A081036
.long 0x0A100AFF, 0x3D372713
.long 0xD1CB0008, 0x03CA1105
.long 0x0A101105
.long 0x0A1010FF, 0x40135761
.long 0x7E104108
.long 0xBF800000
.long 0x021010F2
.long 0x7E104508
.long 0xBF800000
.long 0xD1CB0008, 0x03D210F5
.long 0x0A101105
.long 0x0A1010F0
.long 0x0A0A1036
	;; [unrolled: 13-line block ×4, first 2 shown]
.long 0xBE801D44
.long 0xBF810000
